;; amdgpu-corpus repo=ROCm/aiter kind=harvested arch=n/a opt=n/a

/root/src/amdgpu-assembly/repos/ROCm__aiter/hsa/gfx942/bf16gemm/bf16gemm_fp32bf16_tn_96x64_splitk_clean.co:	file format elf64-amdgpu

Disassembly of section .text:

0000000000002a00 <_ZN5aiter39bf16gemm_fp32bf16_tn_96x64_splitk_cleanE>:
	s_mov_b32 s53, s4                                          // 000000002A00: BEB50004
	s_and_b32 s1, s1, 0xffff                                   // 000000002A04: 8601FF01 0000FFFF
	s_load_dword s25, s[0:1], 0xe0                             // 000000002A0C: C0020640 000000E0
	s_load_dword s26, s[0:1], 0xf0                             // 000000002A14: C0020680 000000F0
	s_load_dword s27, s[0:1], 0x100                            // 000000002A1C: C00206C0 00000100
	s_load_dword s28, s[0:1], 0xa0                             // 000000002A24: C0020700 000000A0
	s_load_dword s29, s[0:1], 0xc0                             // 000000002A2C: C0020740 000000C0
	s_load_dword s30, s[0:1], 0x80                             // 000000002A34: C0020780 00000080
	s_load_dword s20, s[0:1], 0x40                             // 000000002A3C: C0020500 00000040
	s_load_dword s21, s[0:1], 0x50                             // 000000002A44: C0020540 00000050
	s_load_dwordx2 s[4:5], s[0:1], 0x20                        // 000000002A4C: C0060100 00000020
	s_load_dwordx2 s[8:9], s[0:1], 0x30                        // 000000002A54: C0060200 00000030
	s_load_dwordx2 s[12:13], s[0:1], 0x10                      // 000000002A5C: C0060300 00000010
	s_load_dwordx2 s[16:17], s[0:1], 0x0                       // 000000002A64: C0060400 00000000
	s_load_dword s52, s[0:1], 0x110                            // 000000002A6C: C0020D00 00000110
	s_load_dword s54, s[0:1], 0x120                            // 000000002A74: C0020D80 00000120
	s_load_dwordx2 s[36:37], s[0:1], 0x130                     // 000000002A7C: C0060900 00000130
	s_load_dword s61, s[0:1], 0x140                            // 000000002A84: C0020F40 00000140
	s_load_dwordx2 s[40:41], s[0:1], 0x150                     // 000000002A8C: C0060A00 00000150
	v_lshrrev_b32_e32 v1, 10, v0                               // 000000002A94: 2002008A
	v_lshrrev_b32_e32 v2, 10, v1                               // 000000002A98: 2004028A
	v_and_b32_e32 v2, 0x3ff, v2                                // 000000002A9C: 260404FF 000003FF
	v_and_b32_e32 v1, 0x3ff, v1                                // 000000002AA4: 260202FF 000003FF
	v_and_b32_e32 v0, 0x3ff, v0                                // 000000002AAC: 260000FF 000003FF
	v_lshrrev_b32_e32 v3, 6, v0                                // 000000002AB4: 20060086
	v_and_b32_e32 v0, 63, v0                                   // 000000002AB8: 260000BF
	s_mov_b32 s22, s2                                          // 000000002ABC: BE960002
	s_mov_b32 s23, s3                                          // 000000002AC0: BE970003
	v_readfirstlane_b32 s24, v3                                // 000000002AC4: 7E300503
	s_waitcnt lgkmcnt(0)                                       // 000000002AC8: BF8CC07F
	s_mov_b32 s18, -16                                         // 000000002ACC: BE9200D0
	s_mov_b32 s14, -16                                         // 000000002AD0: BE8E00D0
	s_mov_b32 s10, -16                                         // 000000002AD4: BE8A00D0
	s_mov_b32 s6, -16                                          // 000000002AD8: BE8600D0
	s_mov_b32 s38, -16                                         // 000000002ADC: BEA600D0
	s_mov_b32 s19, 0x20000                                     // 000000002AE0: BE9300FF 00020000
	s_mov_b32 s15, 0x20000                                     // 000000002AE8: BE8F00FF 00020000
	s_mov_b32 s11, 0x20000                                     // 000000002AF0: BE8B00FF 00020000
	s_mov_b32 s7, 0x20000                                      // 000000002AF8: BE8700FF 00020000
	s_mov_b32 s39, 0x20000                                     // 000000002B00: BEA700FF 00020000
	s_and_b32 s17, s17, 0xffff                                 // 000000002B08: 8611FF11 0000FFFF
	s_and_b32 s13, s13, 0xffff                                 // 000000002B10: 860DFF0D 0000FFFF
	s_and_b32 s9, s9, 0xffff                                   // 000000002B18: 8609FF09 0000FFFF
	s_and_b32 s5, s5, 0xffff                                   // 000000002B20: 8605FF05 0000FFFF
	s_and_b32 s37, s37, 0xffff                                 // 000000002B28: 8625FF25 0000FFFF
	s_or_b32 s17, s17, 0x40000                                 // 000000002B30: 8711FF11 00040000
	s_or_b32 s13, s13, 0x40000                                 // 000000002B38: 870DFF0D 00040000
	s_or_b32 s9, s9, 0x40000                                   // 000000002B40: 8709FF09 00040000
	s_or_b32 s5, s5, 0x40000                                   // 000000002B48: 8705FF05 00040000
	s_or_b32 s37, s37, 0x40000                                 // 000000002B50: 8725FF25 00040000
	s_add_u32 s31, s26, 63                                     // 000000002B58: 801FBF1A
	s_lshr_b32 s31, s31, 6                                     // 000000002B5C: 8F1F861F
	s_mul_i32 s62, s23, s31                                    // 000000002B60: 923E1F17
	s_add_u32 s62, s62, s22                                    // 000000002B64: 803E163E
	s_lshl_b32 s62, s62, 2                                     // 000000002B68: 8E3E823E
	s_cmp_eq_u32 s53, 0                                        // 000000002B6C: BF068035
	s_cbranch_scc0 label_005F                                  // 000000002B70: BF840002
	s_load_dword s63, s[40:41], s62 glc                        // 000000002B74: C0010FD4 0000003E

0000000000002b7c <label_005F>:
	s_mov_b32 s35, 0x7060302                                   // 000000002B7C: BEA300FF 07060302
	v_mov_b32_e32 v9, 0xffff0000                               // 000000002B84: 7E1202FF FFFF0000
	v_mov_b32_e32 v10, 0x7fff0000                              // 000000002B8C: 7E1402FF 7FFF0000
	v_mov_b32_e32 v11, 0x7fff                                  // 000000002B94: 7E1602FF 00007FFF
	s_mul_i32 s31, s30, s25                                    // 000000002B9C: 921F191E
	s_mov_b32 s18, s31                                         // 000000002BA0: BE92001F
	s_cmp_lt_u32 s54, 1                                        // 000000002BA4: BF0A8136
	s_cbranch_scc0 label_008B                                  // 000000002BA8: BF840020
	v_and_b32_e64 v12, v0, 15                                  // 000000002BAC: D113000C 00011F00
	v_mul_lo_u32 v12, v12, s30                                 // 000000002BB4: D285000C 00003D0C
	v_lshrrev_b32_e32 v4, 4, v0                                // 000000002BBC: 20080084
	v_mul_i32_i24_e32 v4, 16, v4                               // 000000002BC0: 0C080890
	v_add_u32_e32 v12, v4, v12                                 // 000000002BC4: 68181904
	s_mul_i32 s31, s23, 0x60                                   // 000000002BC8: 921FFF17 00000060
	s_mul_i32 s31, s31, s30                                    // 000000002BD0: 921F1E1F
	v_add_u32_e32 v12, s31, v12                                // 000000002BD4: 6818181F
	s_mul_i32 s31, s22, 64                                     // 000000002BD8: 921FC016
	s_mul_i32 s31, s31, 4                                      // 000000002BDC: 921F841F
	v_add_u32_e32 v12, s31, v12                                // 000000002BE0: 6818181F
	s_mul_i32 s31, 64, s24                                     // 000000002BE4: 921F18C0
	v_add_u32_e32 v12, s31, v12                                // 000000002BE8: 6818181F
	s_mul_i32 s31, 16, s30                                     // 000000002BEC: 921F1E90
	v_add_u32_e32 v13, s31, v12                                // 000000002BF0: 681A181F
	v_add_u32_e32 v14, s31, v13                                // 000000002BF4: 681C1A1F
	v_add_u32_e32 v15, s31, v14                                // 000000002BF8: 681E1C1F
	v_add_u32_e32 v16, s31, v15                                // 000000002BFC: 68201E1F
	v_add_u32_e32 v17, s31, v16                                // 000000002C00: 6822201F
	s_mul_i32 s31, s23, 0x60                                   // 000000002C04: 921FFF17 00000060
	s_add_i32 s31, s31, s24                                    // 000000002C0C: 811F181F
	s_mul_i32 s31, s31, s30                                    // 000000002C10: 921F1E1F
	s_mul_i32 s32, s22, 64                                     // 000000002C14: 9220C016
	s_mul_i32 s32, s32, 4                                      // 000000002C18: 92208420
	s_add_i32 s31, s31, s32                                    // 000000002C1C: 811F201F
	v_lshlrev_b32_e32 v18, 2, v0                               // 000000002C20: 24240082
	v_add_u32_e32 v18, s31, v18                                // 000000002C24: 6824241F
	s_branch label_00B0                                        // 000000002C28: BF820025

0000000000002c2c <label_008B>:
	v_and_b32_e64 v12, v0, 15                                  // 000000002C2C: D113000C 00011F00
	v_mul_lo_u32 v12, v12, s30                                 // 000000002C34: D285000C 00003D0C
	v_lshrrev_b32_e32 v4, 4, v0                                // 000000002C3C: 20080084
	v_mul_i32_i24_e32 v4, 8, v4                                // 000000002C40: 0C080888
	v_add_u32_e32 v12, v4, v12                                 // 000000002C44: 68181904
	s_mul_i32 s31, s23, 0x60                                   // 000000002C48: 921FFF17 00000060
	s_mul_i32 s31, s31, s30                                    // 000000002C50: 921F1E1F
	v_add_u32_e32 v12, s31, v12                                // 000000002C54: 6818181F
	s_mul_i32 s31, s22, 64                                     // 000000002C58: 921FC016
	s_mul_i32 s31, s31, 2                                      // 000000002C5C: 921F821F
	v_add_u32_e32 v12, s31, v12                                // 000000002C60: 6818181F
	s_mul_i32 s31, 32, s24                                     // 000000002C64: 921F18A0
	v_add_u32_e32 v12, s31, v12                                // 000000002C68: 6818181F
	s_mul_i32 s31, 16, s30                                     // 000000002C6C: 921F1E90
	v_add_u32_e32 v13, s31, v12                                // 000000002C70: 681A181F
	v_add_u32_e32 v14, s31, v13                                // 000000002C74: 681C1A1F
	v_add_u32_e32 v15, s31, v14                                // 000000002C78: 681E1C1F
	v_add_u32_e32 v16, s31, v15                                // 000000002C7C: 68201E1F
	v_add_u32_e32 v17, s31, v16                                // 000000002C80: 6822201F
	s_mul_i32 s31, s23, 0x60                                   // 000000002C84: 921FFF17 00000060
	s_add_i32 s31, s31, s24                                    // 000000002C8C: 811F181F
	s_mul_i32 s31, s31, s30                                    // 000000002C90: 921F1E1F
	s_mul_i32 s32, s22, 64                                     // 000000002C94: 9220C016
	s_mul_i32 s32, s32, 2                                      // 000000002C98: 92208220
	s_add_i32 s31, s31, s32                                    // 000000002C9C: 811F201F
	v_lshrrev_b32_e32 v4, 5, v0                                // 000000002CA0: 20080085
	s_mul_i32 s32, s30, 4                                      // 000000002CA4: 9220841E
	v_mul_lo_u32 v4, v4, s32                                   // 000000002CA8: D2850004 00004104
	v_and_b32_e32 v5, 31, v0                                   // 000000002CB0: 260A009F
	v_lshlrev_b32_e32 v5, 2, v5                                // 000000002CB4: 240A0A82
	v_add_u32_e32 v18, v4, v5                                  // 000000002CB8: 68240B04
	v_add_u32_e32 v18, s31, v18                                // 000000002CBC: 6824241F

0000000000002cc0 <label_00B0>:
	s_cmp_eq_u32 s53, 0                                        // 000000002CC0: BF068035
	s_cbranch_scc0 label_00D8                                  // 000000002CC4: BF840026
	s_mov_b32 s31, 0                                           // 000000002CC8: BE9F0080

0000000000002ccc <label_00B3>:
	s_waitcnt lgkmcnt(0)                                       // 000000002CCC: BF8CC07F
	s_cmp_eq_u32 s63, s31                                      // 000000002CD0: BF061F3F
	s_cbranch_scc1 label_00B9                                  // 000000002CD4: BF850003
	s_load_dword s63, s[40:41], s62 glc                        // 000000002CD8: C0010FD4 0000003E
	s_branch label_00B3                                        // 000000002CE0: BF82FFFA

0000000000002ce4 <label_00B9>:
	v_mov_b32_e32 v68, 0                                       // 000000002CE4: 7E880280
	v_mov_b32_e32 v69, 0                                       // 000000002CE8: 7E8A0280
	v_mov_b32_e32 v70, 0                                       // 000000002CEC: 7E8C0280
	v_mov_b32_e32 v71, 0                                       // 000000002CF0: 7E8E0280
	s_cmp_lt_u32 s54, 1                                        // 000000002CF4: BF0A8136
	s_cbranch_scc0 label_00CC                                  // 000000002CF8: BF84000D
	buffer_store_dwordx4 v[68:71], v12, s[16:19], 0 offen sc0 nt sc1// 000000002CFC: E07ED000 8004440C
	buffer_store_dwordx4 v[68:71], v13, s[16:19], 0 offen sc0 nt sc1// 000000002D04: E07ED000 8004440D
	buffer_store_dwordx4 v[68:71], v14, s[16:19], 0 offen sc0 nt sc1// 000000002D0C: E07ED000 8004440E
	buffer_store_dwordx4 v[68:71], v15, s[16:19], 0 offen sc0 nt sc1// 000000002D14: E07ED000 8004440F
	buffer_store_dwordx4 v[68:71], v16, s[16:19], 0 offen sc0 nt sc1// 000000002D1C: E07ED000 80044410
	buffer_store_dwordx4 v[68:71], v17, s[16:19], 0 offen sc0 nt sc1// 000000002D24: E07ED000 80044411
	s_branch label_00D8                                        // 000000002D2C: BF82000C

0000000000002d30 <label_00CC>:
	buffer_store_dwordx2 v[68:69], v12, s[16:19], 0 offen sc0 nt sc1// 000000002D30: E076D000 8004440C
	buffer_store_dwordx2 v[68:69], v13, s[16:19], 0 offen sc0 nt sc1// 000000002D38: E076D000 8004440D
	buffer_store_dwordx2 v[68:69], v14, s[16:19], 0 offen sc0 nt sc1// 000000002D40: E076D000 8004440E
	buffer_store_dwordx2 v[68:69], v15, s[16:19], 0 offen sc0 nt sc1// 000000002D48: E076D000 8004440F
	buffer_store_dwordx2 v[68:69], v16, s[16:19], 0 offen sc0 nt sc1// 000000002D50: E076D000 80044410
	buffer_store_dwordx2 v[68:69], v17, s[16:19], 0 offen sc0 nt sc1// 000000002D58: E076D000 80044411

0000000000002d60 <label_00D8>:
	s_mul_i32 s31, s28, s25                                    // 000000002D60: 921F191C
	s_mov_b32 s6, s31                                          // 000000002D64: BE86001F
	s_mov_b32 s44, 0x80                                        // 000000002D68: BEAC00FF 00000080
	v_lshrrev_b32_e32 v4, 5, v0                                // 000000002D70: 20080085
	v_lshlrev_b32_e32 v4, 2, v4                                // 000000002D74: 24080882
	v_mul_lo_u32 v19, v4, s28                                  // 000000002D78: D2850013 00003904
	v_and_b32_e32 v4, 31, v0                                   // 000000002D80: 2608009F
	v_lshlrev_b32_e32 v4, 2, v4                                // 000000002D84: 24080882
	v_add_u32_e32 v19, v19, v4                                 // 000000002D88: 68260913
	s_mul_i32 s31, 8, s28                                      // 000000002D8C: 921F1C88
	v_add_u32_e64 v20, v19, s31                                // 000000002D90: D1340014 00003F13
	v_add_u32_e64 v21, v20, s31                                // 000000002D98: D1340015 00003F14
	v_add_u32_e64 v22, v21, s31                                // 000000002DA0: D1340016 00003F15
	v_add_u32_e64 v23, v22, s31                                // 000000002DA8: D1340017 00003F16
	v_add_u32_e64 v24, v23, s31                                // 000000002DB0: D1340018 00003F17
	v_add_u32_e64 v25, v24, s31                                // 000000002DB8: D1340019 00003F18
	v_add_u32_e64 v26, v25, s31                                // 000000002DC0: D134001A 00003F19
	v_add_u32_e64 v27, v26, s31                                // 000000002DC8: D134001B 00003F1A
	v_add_u32_e64 v28, v27, s31                                // 000000002DD0: D134001C 00003F1B
	v_add_u32_e64 v29, v28, s31                                // 000000002DD8: D134001D 00003F1C
	v_add_u32_e64 v30, v29, s31                                // 000000002DE0: D134001E 00003F1D
	s_mul_i32 s31, s23, 0x60                                   // 000000002DE8: 921FFF17 00000060
	s_add_u32 s31, s31, s24                                    // 000000002DF0: 801F181F
	s_mul_i32 s32, s31, s28                                    // 000000002DF4: 92201C1F
	v_add_u32_e64 v19, v19, s32                                // 000000002DF8: D1340013 00004113
	v_add_u32_e64 v20, v20, s32                                // 000000002E00: D1340014 00004114
	v_add_u32_e64 v21, v21, s32                                // 000000002E08: D1340015 00004115
	v_add_u32_e64 v22, v22, s32                                // 000000002E10: D1340016 00004116
	v_add_u32_e64 v23, v23, s32                                // 000000002E18: D1340017 00004117
	v_add_u32_e64 v24, v24, s32                                // 000000002E20: D1340018 00004118
	v_add_u32_e64 v25, v25, s32                                // 000000002E28: D1340019 00004119
	v_add_u32_e64 v26, v26, s32                                // 000000002E30: D134001A 0000411A
	v_add_u32_e64 v27, v27, s32                                // 000000002E38: D134001B 0000411B
	v_add_u32_e64 v28, v28, s32                                // 000000002E40: D134001C 0000411C
	v_add_u32_e64 v29, v29, s32                                // 000000002E48: D134001D 0000411D
	v_add_u32_e64 v30, v30, s32                                // 000000002E50: D134001E 0000411E
	v_lshrrev_b32_e32 v4, 4, v0                                // 000000002E58: 20080084
	v_lshlrev_b32_e32 v5, 2, v4                                // 000000002E5C: 240A0882
	v_and_b32_e32 v4, 15, v0                                   // 000000002E60: 2608008F
	v_lshrrev_b32_e32 v6, 2, v4                                // 000000002E64: 200C0882
	v_lshlrev_b32_e32 v6, 5, v6                                // 000000002E68: 240C0C85
	v_add_u32_e32 v5, v6, v5                                   // 000000002E6C: 680A0B06
	v_and_b32_e32 v4, 3, v0                                    // 000000002E70: 26080083
	v_mul_u32_u24_e32 v6, 0x308, v4                            // 000000002E74: 100C08FF 00000308
	v_add_u32_e32 v5, v6, v5                                   // 000000002E7C: 680A0B06
	v_lshlrev_b32_e32 v31, 2, v5                               // 000000002E80: 243E0A82
	s_mul_i32 s31, s24, 0xc20                                  // 000000002E84: 921FFF18 00000C20
	s_add_u32 s46, 0, s31                                      // 000000002E8C: 802E1F80
	s_add_u32 s47, 0x3080, s46                                 // 000000002E90: 802F2EFF 00003080
	s_add_u32 s48, 0x3080, s47                                 // 000000002E98: 80302FFF 00003080
	s_mul_i32 s31, s29, s26                                    // 000000002EA0: 921F1A1D
	s_mov_b32 s10, s31                                         // 000000002EA4: BE8A001F
	s_mov_b32 s45, 0x80                                        // 000000002EA8: BEAD00FF 00000080
	v_lshrrev_b32_e32 v4, 5, v0                                // 000000002EB0: 20080085
	v_lshlrev_b32_e32 v4, 2, v4                                // 000000002EB4: 24080882
	v_mul_lo_u32 v32, v4, s29                                  // 000000002EB8: D2850020 00003B04
	v_and_b32_e32 v4, 31, v0                                   // 000000002EC0: 2608009F
	v_lshlrev_b32_e32 v4, 2, v4                                // 000000002EC4: 24080882
	v_add_u32_e32 v32, v32, v4                                 // 000000002EC8: 68400920
	s_mul_i32 s31, 8, s29                                      // 000000002ECC: 921F1D88
	v_add_u32_e64 v33, v32, s31                                // 000000002ED0: D1340021 00003F20
	v_add_u32_e64 v34, v33, s31                                // 000000002ED8: D1340022 00003F21
	v_add_u32_e64 v35, v34, s31                                // 000000002EE0: D1340023 00003F22
	v_add_u32_e64 v36, v35, s31                                // 000000002EE8: D1340024 00003F23
	v_add_u32_e64 v37, v36, s31                                // 000000002EF0: D1340025 00003F24
	v_add_u32_e64 v38, v37, s31                                // 000000002EF8: D1340026 00003F25
	v_add_u32_e64 v39, v38, s31                                // 000000002F00: D1340027 00003F26
	s_mul_i32 s31, s22, 64                                     // 000000002F08: 921FC016
	s_add_u32 s31, s31, s24                                    // 000000002F0C: 801F181F
	s_mul_i32 s32, s31, s29                                    // 000000002F10: 92201D1F
	v_add_u32_e64 v32, v32, s32                                // 000000002F14: D1340020 00004120
	v_add_u32_e64 v33, v33, s32                                // 000000002F1C: D1340021 00004121
	v_add_u32_e64 v34, v34, s32                                // 000000002F24: D1340022 00004122
	v_add_u32_e64 v35, v35, s32                                // 000000002F2C: D1340023 00004123
	v_add_u32_e64 v36, v36, s32                                // 000000002F34: D1340024 00004124
	v_add_u32_e64 v37, v37, s32                                // 000000002F3C: D1340025 00004125
	v_add_u32_e64 v38, v38, s32                                // 000000002F44: D1340026 00004126
	v_add_u32_e64 v39, v39, s32                                // 000000002F4C: D1340027 00004127
	s_cmp_le_u32 s52, 1                                        // 000000002F54: BF0B8134
	s_cbranch_scc1 label_01A8                                  // 000000002F58: BF850051
	s_lshr_b32 s32, s27, 6                                     // 000000002F5C: 8F20861B
	v_cvt_f32_u32_e32 v4, s52                                  // 000000002F60: 7E080C34
	s_sub_i32 s31, 0, s52                                      // 000000002F64: 819F3480
	v_rcp_iflag_f32_e32 v4, v4                                 // 000000002F68: 7E084704
	s_nop 0                                                    // 000000002F6C: BF800000
	v_mul_f32_e32 v4, 0x4f7ffffe, v4                           // 000000002F70: 0A0808FF 4F7FFFFE
	v_cvt_u32_f32_e32 v4, v4                                   // 000000002F78: 7E080F04
	v_mul_lo_u32 v5, s31, v4                                   // 000000002F7C: D2850005 0002081F
	v_mul_hi_u32 v5, v4, v5                                    // 000000002F84: D2860005 00020B04
	v_add_u32_e32 v4, v4, v5                                   // 000000002F8C: 68080B04
	v_mul_hi_u32 v4, s32, v4                                   // 000000002F90: D2860004 00020820
	v_mul_lo_u32 v5, v4, s52                                   // 000000002F98: D2850005 00006904
	v_sub_u32_e32 v7, s32, v5                                  // 000000002FA0: 6A0E0A20
	v_add_u32_e32 v6, 1, v4                                    // 000000002FA4: 680C0881
	v_cmp_le_u32_e32 vcc, s52, v7                              // 000000002FA8: 7D960E34
	v_subrev_u32_e32 v5, s52, v7                               // 000000002FAC: 6C0A0E34
	s_nop 0                                                    // 000000002FB0: BF800000
	v_cndmask_b32_e32 v4, v4, v6, vcc                          // 000000002FB4: 00080D04
	v_cndmask_b32_e32 v7, v7, v5, vcc                          // 000000002FB8: 000E0B07
	v_add_u32_e32 v5, 1, v4                                    // 000000002FBC: 680A0881
	v_cmp_le_u32_e32 vcc, s52, v7                              // 000000002FC0: 7D960E34
	s_nop 1                                                    // 000000002FC4: BF800001
	v_cndmask_b32_e32 v7, v4, v5, vcc                          // 000000002FC8: 000E0B04
	s_nop 3                                                    // 000000002FCC: BF800003
	v_readfirstlane_b32 s32, v7                                // 000000002FD0: 7E400507
	s_nop 3                                                    // 000000002FD4: BF800003
	s_mul_i32 s32, s32, 64                                     // 000000002FD8: 9220C020
	s_mul_i32 s31, s53, s32                                    // 000000002FDC: 921F2035
	s_sub_i32 s56, s27, s31                                    // 000000002FE0: 81B81F1B
	s_sub_i32 s31, s52, 1                                      // 000000002FE4: 819F8134
	s_cmp_eq_i32 s53, s31                                      // 000000002FE8: BF001F35
	s_cselect_b32 s27, s56, s32                                // 000000002FEC: 851B2038
	s_mul_i32 s31, s32, 2                                      // 000000002FF0: 921F8220
	s_mul_i32 s31, s31, s53                                    // 000000002FF4: 921F351F
	v_add_u32_e64 v19, v19, s31                                // 000000002FF8: D1340013 00003F13
	v_add_u32_e64 v20, v20, s31                                // 000000003000: D1340014 00003F14
	v_add_u32_e64 v21, v21, s31                                // 000000003008: D1340015 00003F15
	v_add_u32_e64 v22, v22, s31                                // 000000003010: D1340016 00003F16
	v_add_u32_e64 v23, v23, s31                                // 000000003018: D1340017 00003F17
	v_add_u32_e64 v24, v24, s31                                // 000000003020: D1340018 00003F18
	v_add_u32_e64 v25, v25, s31                                // 000000003028: D1340019 00003F19
	v_add_u32_e64 v26, v26, s31                                // 000000003030: D134001A 00003F1A
	v_add_u32_e64 v27, v27, s31                                // 000000003038: D134001B 00003F1B
	v_add_u32_e64 v28, v28, s31                                // 000000003040: D134001C 00003F1C
	v_add_u32_e64 v29, v29, s31                                // 000000003048: D134001D 00003F1D
	v_add_u32_e64 v30, v30, s31                                // 000000003050: D134001E 00003F1E
	s_mul_i32 s31, s32, 2                                      // 000000003058: 921F8220
	s_mul_i32 s31, s31, s53                                    // 00000000305C: 921F351F
	v_add_u32_e64 v32, v32, s31                                // 000000003060: D1340020 00003F20
	v_add_u32_e64 v33, v33, s31                                // 000000003068: D1340021 00003F21
	v_add_u32_e64 v34, v34, s31                                // 000000003070: D1340022 00003F22
	v_add_u32_e64 v35, v35, s31                                // 000000003078: D1340023 00003F23
	v_add_u32_e64 v36, v36, s31                                // 000000003080: D1340024 00003F24
	v_add_u32_e64 v37, v37, s31                                // 000000003088: D1340025 00003F25
	v_add_u32_e64 v38, v38, s31                                // 000000003090: D1340026 00003F26
	v_add_u32_e64 v39, v39, s31                                // 000000003098: D1340027 00003F27

00000000000030a0 <label_01A8>:
	v_lshrrev_b32_e32 v4, 4, v0                                // 0000000030A0: 20080084
	v_lshlrev_b32_e32 v5, 2, v4                                // 0000000030A4: 240A0882
	v_and_b32_e32 v4, 15, v0                                   // 0000000030A8: 2608008F
	v_lshrrev_b32_e32 v6, 2, v4                                // 0000000030AC: 200C0882
	v_lshlrev_b32_e32 v6, 5, v6                                // 0000000030B0: 240C0C85
	v_add_u32_e32 v5, v6, v5                                   // 0000000030B4: 680A0B06
	v_and_b32_e32 v4, 3, v0                                    // 0000000030B8: 26080083
	v_mul_u32_u24_e32 v6, 0x208, v4                            // 0000000030BC: 100C08FF 00000208
	v_add_u32_e32 v5, v6, v5                                   // 0000000030C4: 680A0B06
	v_lshlrev_b32_e32 v40, 2, v5                               // 0000000030C8: 24500A82
	s_mul_i32 s31, s24, 0x200                                  // 0000000030CC: 921FFF18 00000200
	v_add_u32_e32 v40, s31, v40                                // 0000000030D4: 6850501F
	s_mul_i32 s31, s24, 0x820                                  // 0000000030D8: 921FFF18 00000820
	s_add_u32 s49, 0x9180, s31                                 // 0000000030E0: 80311FFF 00009180
	s_add_u32 s50, 0x2080, s49                                 // 0000000030E8: 803231FF 00002080
	s_add_u32 s51, 0x2080, s50                                 // 0000000030F0: 803332FF 00002080
	s_cmp_eq_u32 s61, 1                                        // 0000000030F8: BF06813D
	s_cbranch_scc0 label_01F9                                  // 0000000030FC: BF840039
	s_cmp_eq_i32 s53, 0                                        // 000000003100: BF008035
	s_cbranch_scc0 label_01F9                                  // 000000003104: BF840037
	s_mul_i32 s31, 2, s26                                      // 000000003108: 921F1A82
	s_mov_b32 s38, s31                                         // 00000000310C: BEA6001F
	v_lshrrev_b32_e32 v4, 4, v0                                // 000000003110: 20080084
	v_mul_i32_i24_e32 v80, 8, v4                               // 000000003114: 0CA00888
	s_mul_i32 s31, 32, s24                                     // 000000003118: 921F18A0
	v_add_u32_e32 v80, s31, v80                                // 00000000311C: 68A0A01F
	s_mul_i32 s32, s22, 64                                     // 000000003120: 9220C016
	s_mul_i32 s32, s32, 2                                      // 000000003124: 92208220
	v_add_u32_e32 v80, s32, v80                                // 000000003128: 68A0A020
	v_mov_b32_e32 v82, 0                                       // 00000000312C: 7EA40280
	v_mov_b32_e32 v83, 0                                       // 000000003130: 7EA60280
	buffer_load_dwordx2 v[82:83], v80, s[36:39], 0 offen       // 000000003134: E0541000 80095250
	s_waitcnt vmcnt(0)                                         // 00000000313C: BF8C0F70
	v_mov_b32_e32 v4, 0xffff0000                               // 000000003140: 7E0802FF FFFF0000
	v_and_b32_e32 v4, v82, v4                                  // 000000003148: 26080952
	v_mov_b32_e32 v5, 0xffff                                   // 00000000314C: 7E0A02FF 0000FFFF
	v_and_b32_e32 v5, v82, v5                                  // 000000003154: 260A0B52
	v_mov_b32_e32 v85, v4                                      // 000000003158: 7EAA0304
	v_lshlrev_b32_e32 v84, 16, v5                              // 00000000315C: 24A80A90
	v_mov_b32_e32 v4, 0xffff0000                               // 000000003160: 7E0802FF FFFF0000
	v_and_b32_e32 v4, v83, v4                                  // 000000003168: 26080953
	v_mov_b32_e32 v5, 0xffff                                   // 00000000316C: 7E0A02FF 0000FFFF
	v_and_b32_e32 v5, v83, v5                                  // 000000003174: 260A0B53
	v_mov_b32_e32 v87, v4                                      // 000000003178: 7EAE0304
	v_lshlrev_b32_e32 v86, 16, v5                              // 00000000317C: 24AC0A90
	v_mov_b32_e32 v44, v84                                     // 000000003180: 7E580354
	v_mov_b32_e32 v45, v85                                     // 000000003184: 7E5A0355
	v_mov_b32_e32 v46, v86                                     // 000000003188: 7E5C0356
	v_mov_b32_e32 v47, v87                                     // 00000000318C: 7E5E0357
	v_mov_b32_e32 v48, v84                                     // 000000003190: 7E600354
	v_mov_b32_e32 v49, v85                                     // 000000003194: 7E620355
	v_mov_b32_e32 v50, v86                                     // 000000003198: 7E640356
	v_mov_b32_e32 v51, v87                                     // 00000000319C: 7E660357
	v_mov_b32_e32 v52, v84                                     // 0000000031A0: 7E680354
	v_mov_b32_e32 v53, v85                                     // 0000000031A4: 7E6A0355
	v_mov_b32_e32 v54, v86                                     // 0000000031A8: 7E6C0356
	v_mov_b32_e32 v55, v87                                     // 0000000031AC: 7E6E0357
	v_mov_b32_e32 v56, v84                                     // 0000000031B0: 7E700354
	v_mov_b32_e32 v57, v85                                     // 0000000031B4: 7E720355
	v_mov_b32_e32 v58, v86                                     // 0000000031B8: 7E740356
	v_mov_b32_e32 v59, v87                                     // 0000000031BC: 7E760357
	v_mov_b32_e32 v60, v84                                     // 0000000031C0: 7E780354
	v_mov_b32_e32 v61, v85                                     // 0000000031C4: 7E7A0355
	v_mov_b32_e32 v62, v86                                     // 0000000031C8: 7E7C0356
	v_mov_b32_e32 v63, v87                                     // 0000000031CC: 7E7E0357
	v_mov_b32_e32 v64, v84                                     // 0000000031D0: 7E800354
	v_mov_b32_e32 v65, v85                                     // 0000000031D4: 7E820355
	v_mov_b32_e32 v66, v86                                     // 0000000031D8: 7E840356
	v_mov_b32_e32 v67, v87                                     // 0000000031DC: 7E860357
	s_branch label_0211                                        // 0000000031E0: BF820018

00000000000031e4 <label_01F9>:
	v_mov_b32_e32 v44, 0                                       // 0000000031E4: 7E580280
	v_mov_b32_e32 v45, 0                                       // 0000000031E8: 7E5A0280
	v_mov_b32_e32 v46, 0                                       // 0000000031EC: 7E5C0280
	v_mov_b32_e32 v47, 0                                       // 0000000031F0: 7E5E0280
	v_mov_b32_e32 v48, 0                                       // 0000000031F4: 7E600280
	v_mov_b32_e32 v49, 0                                       // 0000000031F8: 7E620280
	v_mov_b32_e32 v50, 0                                       // 0000000031FC: 7E640280
	v_mov_b32_e32 v51, 0                                       // 000000003200: 7E660280
	v_mov_b32_e32 v52, 0                                       // 000000003204: 7E680280
	v_mov_b32_e32 v53, 0                                       // 000000003208: 7E6A0280
	v_mov_b32_e32 v54, 0                                       // 00000000320C: 7E6C0280
	v_mov_b32_e32 v55, 0                                       // 000000003210: 7E6E0280
	v_mov_b32_e32 v56, 0                                       // 000000003214: 7E700280
	v_mov_b32_e32 v57, 0                                       // 000000003218: 7E720280
	v_mov_b32_e32 v58, 0                                       // 00000000321C: 7E740280
	v_mov_b32_e32 v59, 0                                       // 000000003220: 7E760280
	v_mov_b32_e32 v60, 0                                       // 000000003224: 7E780280
	v_mov_b32_e32 v61, 0                                       // 000000003228: 7E7A0280
	v_mov_b32_e32 v62, 0                                       // 00000000322C: 7E7C0280
	v_mov_b32_e32 v63, 0                                       // 000000003230: 7E7E0280
	v_mov_b32_e32 v64, 0                                       // 000000003234: 7E800280
	v_mov_b32_e32 v65, 0                                       // 000000003238: 7E820280
	v_mov_b32_e32 v66, 0                                       // 00000000323C: 7E840280
	v_mov_b32_e32 v67, 0                                       // 000000003240: 7E860280

0000000000003244 <label_0211>:
	s_add_u32 m0, 0, s46                                       // 000000003244: 807C2E80
	buffer_load_dword v19, s[4:7], 0 offen lds                 // 000000003248: E0511000 80010013
	s_add_u32 m0, 0x100, s46                                   // 000000003250: 807C2EFF 00000100
	buffer_load_dword v20, s[4:7], 0 offen lds                 // 000000003258: E0511000 80010014
	s_add_u32 m0, 0x200, s46                                   // 000000003260: 807C2EFF 00000200
	;; [unrolled: 2-line block ×5, first 2 shown]
	buffer_load_dword v24, s[4:7], 0 offen lds                 // 000000003298: E0511000 80010018
	s_add_u32 m0, 0x600, s46                                   // 0000000032A0: 807C2EFF 00000600
	buffer_load_dword v25, s[4:7], 0 offen lds                 // 0000000032A8: E0511000 80010019
	s_add_u32 m0, 0x700, s46                                   // 0000000032B0: 807C2EFF 00000700
	buffer_load_dword v26, s[4:7], 0 offen lds                 // 0000000032B8: E0511000 8001001A
	s_add_u32 m0, 0x800, s46                                   // 0000000032C0: 807C2EFF 00000800
	buffer_load_dword v27, s[4:7], 0 offen lds                 // 0000000032C8: E0511000 8001001B
	s_add_u32 m0, 0x900, s46                                   // 0000000032D0: 807C2EFF 00000900
	buffer_load_dword v28, s[4:7], 0 offen lds                 // 0000000032D8: E0511000 8001001C
	s_add_u32 m0, 0xa00, s46                                   // 0000000032E0: 807C2EFF 00000A00
	buffer_load_dword v29, s[4:7], 0 offen lds                 // 0000000032E8: E0511000 8001001D
	s_add_u32 m0, 0xb00, s46                                   // 0000000032F0: 807C2EFF 00000B00
	buffer_load_dword v30, s[4:7], 0 offen lds                 // 0000000032F8: E0511000 8001001E
	s_add_u32 s4, s44, s4                                      // 000000003300: 8004042C
	s_addc_u32 s5, 0, s5                                       // 000000003304: 82050580
	s_sub_u32 s6, s6, s44                                      // 000000003308: 80862C06
	s_add_u32 m0, 0, s49                                       // 00000000330C: 807C3180
	buffer_load_dword v32, s[8:11], 0 offen lds                // 000000003310: E0511000 80020020
	s_add_u32 m0, 0x100, s49                                   // 000000003318: 807C31FF 00000100
	buffer_load_dword v33, s[8:11], 0 offen lds                // 000000003320: E0511000 80020021
	s_add_u32 m0, 0x200, s49                                   // 000000003328: 807C31FF 00000200
	;; [unrolled: 2-line block ×7, first 2 shown]
	buffer_load_dword v39, s[8:11], 0 offen lds                // 000000003380: E0511000 80020027
	s_add_u32 s8, s45, s8                                      // 000000003388: 8008082D
	s_addc_u32 s9, 0, s9                                       // 00000000338C: 82090980
	s_sub_u32 s10, s10, s45                                    // 000000003390: 808A2D0A
	s_add_u32 m0, 0, s47                                       // 000000003394: 807C2F80
	buffer_load_dword v19, s[4:7], 0 offen lds                 // 000000003398: E0511000 80010013
	s_add_u32 m0, 0x100, s47                                   // 0000000033A0: 807C2FFF 00000100
	buffer_load_dword v20, s[4:7], 0 offen lds                 // 0000000033A8: E0511000 80010014
	s_add_u32 m0, 0x200, s47                                   // 0000000033B0: 807C2FFF 00000200
	buffer_load_dword v21, s[4:7], 0 offen lds                 // 0000000033B8: E0511000 80010015
	s_add_u32 m0, 0x300, s47                                   // 0000000033C0: 807C2FFF 00000300
	buffer_load_dword v22, s[4:7], 0 offen lds                 // 0000000033C8: E0511000 80010016
	s_add_u32 m0, 0x400, s47                                   // 0000000033D0: 807C2FFF 00000400
	buffer_load_dword v23, s[4:7], 0 offen lds                 // 0000000033D8: E0511000 80010017
	s_add_u32 m0, 0x500, s47                                   // 0000000033E0: 807C2FFF 00000500
	buffer_load_dword v24, s[4:7], 0 offen lds                 // 0000000033E8: E0511000 80010018
	s_add_u32 m0, 0x600, s47                                   // 0000000033F0: 807C2FFF 00000600
	buffer_load_dword v25, s[4:7], 0 offen lds                 // 0000000033F8: E0511000 80010019
	s_add_u32 m0, 0x700, s47                                   // 000000003400: 807C2FFF 00000700
	buffer_load_dword v26, s[4:7], 0 offen lds                 // 000000003408: E0511000 8001001A
	s_add_u32 m0, 0x800, s47                                   // 000000003410: 807C2FFF 00000800
	buffer_load_dword v27, s[4:7], 0 offen lds                 // 000000003418: E0511000 8001001B
	s_add_u32 m0, 0x900, s47                                   // 000000003420: 807C2FFF 00000900
	buffer_load_dword v28, s[4:7], 0 offen lds                 // 000000003428: E0511000 8001001C
	s_add_u32 m0, 0xa00, s47                                   // 000000003430: 807C2FFF 00000A00
	buffer_load_dword v29, s[4:7], 0 offen lds                 // 000000003438: E0511000 8001001D
	s_add_u32 m0, 0xb00, s47                                   // 000000003440: 807C2FFF 00000B00
	buffer_load_dword v30, s[4:7], 0 offen lds                 // 000000003448: E0511000 8001001E
	s_add_u32 s4, s44, s4                                      // 000000003450: 8004042C
	s_addc_u32 s5, 0, s5                                       // 000000003454: 82050580
	s_sub_u32 s6, s6, s44                                      // 000000003458: 80862C06
	s_add_u32 m0, 0, s50                                       // 00000000345C: 807C3280
	buffer_load_dword v32, s[8:11], 0 offen lds                // 000000003460: E0511000 80020020
	s_add_u32 m0, 0x100, s50                                   // 000000003468: 807C32FF 00000100
	buffer_load_dword v33, s[8:11], 0 offen lds                // 000000003470: E0511000 80020021
	s_add_u32 m0, 0x200, s50                                   // 000000003478: 807C32FF 00000200
	;; [unrolled: 2-line block ×4, first 2 shown]
	buffer_load_dword v36, s[8:11], 0 offen lds                // 0000000034A0: E0511000 80020024
	s_add_u32 m0, 0x500, s50                                   // 0000000034A8: 807C32FF 00000500
	buffer_load_dword v37, s[8:11], 0 offen lds                // 0000000034B0: E0511000 80020025
	s_add_u32 m0, 0x600, s50                                   // 0000000034B8: 807C32FF 00000600
	buffer_load_dword v38, s[8:11], 0 offen lds                // 0000000034C0: E0511000 80020026
	s_add_u32 m0, 0x700, s50                                   // 0000000034C8: 807C32FF 00000700
	buffer_load_dword v39, s[8:11], 0 offen lds                // 0000000034D0: E0511000 80020027
	s_add_u32 s8, s45, s8                                      // 0000000034D8: 8008082D
	s_addc_u32 s9, 0, s9                                       // 0000000034DC: 82090980
	s_sub_u32 s10, s10, s45                                    // 0000000034E0: 808A2D0A
	s_add_u32 m0, 0, s48                                       // 0000000034E4: 807C3080
	buffer_load_dword v19, s[4:7], 0 offen lds                 // 0000000034E8: E0511000 80010013
	s_add_u32 m0, 0x100, s48                                   // 0000000034F0: 807C30FF 00000100
	buffer_load_dword v20, s[4:7], 0 offen lds                 // 0000000034F8: E0511000 80010014
	s_add_u32 m0, 0x200, s48                                   // 000000003500: 807C30FF 00000200
	buffer_load_dword v21, s[4:7], 0 offen lds                 // 000000003508: E0511000 80010015
	s_add_u32 m0, 0x300, s48                                   // 000000003510: 807C30FF 00000300
	buffer_load_dword v22, s[4:7], 0 offen lds                 // 000000003518: E0511000 80010016
	;; [unrolled: 2-line block ×5, first 2 shown]
	s_add_u32 m0, 0x700, s48                                   // 000000003550: 807C30FF 00000700
	buffer_load_dword v26, s[4:7], 0 offen lds                 // 000000003558: E0511000 8001001A
	s_add_u32 m0, 0x800, s48                                   // 000000003560: 807C30FF 00000800
	buffer_load_dword v27, s[4:7], 0 offen lds                 // 000000003568: E0511000 8001001B
	s_add_u32 m0, 0x900, s48                                   // 000000003570: 807C30FF 00000900
	buffer_load_dword v28, s[4:7], 0 offen lds                 // 000000003578: E0511000 8001001C
	s_add_u32 m0, 0xa00, s48                                   // 000000003580: 807C30FF 00000A00
	buffer_load_dword v29, s[4:7], 0 offen lds                 // 000000003588: E0511000 8001001D
	s_add_u32 m0, 0xb00, s48                                   // 000000003590: 807C30FF 00000B00
	buffer_load_dword v30, s[4:7], 0 offen lds                 // 000000003598: E0511000 8001001E
	s_add_u32 s4, s44, s4                                      // 0000000035A0: 8004042C
	s_addc_u32 s5, 0, s5                                       // 0000000035A4: 82050580
	s_sub_u32 s6, s6, s44                                      // 0000000035A8: 80862C06
	s_add_u32 m0, 0, s51                                       // 0000000035AC: 807C3380
	buffer_load_dword v32, s[8:11], 0 offen lds                // 0000000035B0: E0511000 80020020
	s_add_u32 m0, 0x100, s51                                   // 0000000035B8: 807C33FF 00000100
	buffer_load_dword v33, s[8:11], 0 offen lds                // 0000000035C0: E0511000 80020021
	s_add_u32 m0, 0x200, s51                                   // 0000000035C8: 807C33FF 00000200
	buffer_load_dword v34, s[8:11], 0 offen lds                // 0000000035D0: E0511000 80020022
	s_add_u32 m0, 0x300, s51                                   // 0000000035D8: 807C33FF 00000300
	buffer_load_dword v35, s[8:11], 0 offen lds                // 0000000035E0: E0511000 80020023
	s_add_u32 m0, 0x400, s51                                   // 0000000035E8: 807C33FF 00000400
	buffer_load_dword v36, s[8:11], 0 offen lds                // 0000000035F0: E0511000 80020024
	s_add_u32 m0, 0x500, s51                                   // 0000000035F8: 807C33FF 00000500
	buffer_load_dword v37, s[8:11], 0 offen lds                // 000000003600: E0511000 80020025
	s_add_u32 m0, 0x600, s51                                   // 000000003608: 807C33FF 00000600
	buffer_load_dword v38, s[8:11], 0 offen lds                // 000000003610: E0511000 80020026
	s_add_u32 m0, 0x700, s51                                   // 000000003618: 807C33FF 00000700
	buffer_load_dword v39, s[8:11], 0 offen lds                // 000000003620: E0511000 80020027
	s_add_u32 s8, s45, s8                                      // 000000003628: 8008082D
	s_addc_u32 s9, 0, s9                                       // 00000000362C: 82090980
	s_sub_u32 s10, s10, s45                                    // 000000003630: 808A2D0A
	s_mov_b32 s34, s27                                         // 000000003634: BEA2001B
	s_mov_b32 s33, 0                                           // 000000003638: BEA10080
	s_mul_i32 s31, s23, 0x60                                   // 00000000363C: 921FFF17 00000060
	s_sub_i32 s55, s25, s31                                    // 000000003644: 81B71F19
	s_waitcnt vmcnt(40)                                        // 000000003648: BF8C8F78
	s_barrier                                                  // 00000000364C: BF8A0000
	s_waitcnt lgkmcnt(0)                                       // 000000003650: BF8CC07F
	s_or_b32 s31, s53, s24                                     // 000000003654: 871F1835
	s_cmp_eq_u32 s31, 0                                        // 000000003658: BF06801F
	s_cbranch_scc0 label_031A                                  // 00000000365C: BF840002
	s_store_dword s52, s[40:41], s62 glc                       // 000000003660: C0410D14 0000003E

0000000000003668 <label_031A>:
	ds_read_b128 a[0:3], v31                                   // 000000003668: DBFE0000 0000001F
	ds_read_b128 a[4:7], v31 offset:64                         // 000000003670: DBFE0040 0400001F
	ds_read_b128 a[8:11], v31 offset:512                       // 000000003678: DBFE0200 0800001F
	ds_read_b128 a[12:15], v31 offset:576                      // 000000003680: DBFE0240 0C00001F
	ds_read_b128 a[16:19], v31 offset:1024                     // 000000003688: DBFE0400 1000001F
	ds_read_b128 a[20:23], v31 offset:1088                     // 000000003690: DBFE0440 1400001F
	ds_read_b128 a[24:27], v31 offset:1536                     // 000000003698: DBFE0600 1800001F
	ds_read_b128 a[28:31], v31 offset:1600                     // 0000000036A0: DBFE0640 1C00001F
	ds_read_b128 a[32:35], v31 offset:2048                     // 0000000036A8: DBFE0800 2000001F
	ds_read_b128 a[36:39], v31 offset:2112                     // 0000000036B0: DBFE0840 2400001F
	ds_read_b128 a[40:43], v31 offset:2560                     // 0000000036B8: DBFE0A00 2800001F
	ds_read_b128 a[44:47], v31 offset:2624                     // 0000000036C0: DBFE0A40 2C00001F
	ds_read_b128 a[96:99], v40 offset:37248                    // 0000000036C8: DBFE9180 60000028
	ds_read_b128 a[100:103], v40 offset:37312                  // 0000000036D0: DBFE91C0 64000028
	s_cmp_lt_i32 s24, 2                                        // 0000000036D8: BF048218
	s_cbranch_scc0 label_073B                                  // 0000000036DC: BF840403

00000000000036e0 <label_0338>:
	s_waitcnt vmcnt(20) lgkmcnt(0)                             // 0000000036E0: BF8C4074
	s_barrier                                                  // 0000000036E4: BF8A0000
	v_mfma_f32_16x16x16_bf16 v[44:47], a[96:97], a[0:1], v[44:47]// 0000000036E8: D3E1002C 1CB20160
	s_add_u32 m0, 0, s46                                       // 0000000036F0: 807C2E80
	buffer_load_dword v19, s[4:7], 0 offen lds                 // 0000000036F4: E0511000 80010013
	v_mfma_f32_16x16x16_bf16 v[44:47], a[98:99], a[2:3], v[44:47]// 0000000036FC: D3E1002C 1CB20562
	s_add_u32 m0, 0x100, s46                                   // 000000003704: 807C2EFF 00000100
	buffer_load_dword v20, s[4:7], 0 offen lds                 // 00000000370C: E0511000 80010014
	ds_read_b128 a[48:51], v31 offset:12416                    // 000000003714: DBFE3080 3000001F
	ds_read_b128 a[52:55], v31 offset:12480                    // 00000000371C: DBFE30C0 3400001F
	v_mfma_f32_16x16x16_bf16 v[44:47], a[100:101], a[4:5], v[44:47]// 000000003724: D3E1002C 1CB20964
	s_add_u32 m0, 0x200, s46                                   // 00000000372C: 807C2EFF 00000200
	buffer_load_dword v21, s[4:7], 0 offen lds                 // 000000003734: E0511000 80010015
	v_mfma_f32_16x16x16_bf16 v[44:47], a[102:103], a[6:7], v[44:47]// 00000000373C: D3E1002C 1CB20D66
	s_add_u32 m0, 0x300, s46                                   // 000000003744: 807C2EFF 00000300
	buffer_load_dword v22, s[4:7], 0 offen lds                 // 00000000374C: E0511000 80010016
	ds_read_b128 a[56:59], v31 offset:12928                    // 000000003754: DBFE3280 3800001F
	ds_read_b128 a[60:63], v31 offset:12992                    // 00000000375C: DBFE32C0 3C00001F
	v_mfma_f32_16x16x16_bf16 v[48:51], a[96:97], a[8:9], v[48:51]// 000000003764: D3E10030 1CC21160
	s_add_u32 m0, 0x400, s46                                   // 00000000376C: 807C2EFF 00000400
	buffer_load_dword v23, s[4:7], 0 offen lds                 // 000000003774: E0511000 80010017
	v_mfma_f32_16x16x16_bf16 v[48:51], a[98:99], a[10:11], v[48:51]// 00000000377C: D3E10030 1CC21562
	s_add_u32 m0, 0x500, s46                                   // 000000003784: 807C2EFF 00000500
	buffer_load_dword v24, s[4:7], 0 offen lds                 // 00000000378C: E0511000 80010018
	ds_read_b128 a[64:67], v31 offset:13440                    // 000000003794: DBFE3480 4000001F
	ds_read_b128 a[68:71], v31 offset:13504                    // 00000000379C: DBFE34C0 4400001F
	v_mfma_f32_16x16x16_bf16 v[48:51], a[100:101], a[12:13], v[48:51]// 0000000037A4: D3E10030 1CC21964
	s_add_u32 m0, 0x600, s46                                   // 0000000037AC: 807C2EFF 00000600
	buffer_load_dword v25, s[4:7], 0 offen lds                 // 0000000037B4: E0511000 80010019
	v_mfma_f32_16x16x16_bf16 v[48:51], a[102:103], a[14:15], v[48:51]// 0000000037BC: D3E10030 1CC21D66
	s_add_u32 m0, 0x700, s46                                   // 0000000037C4: 807C2EFF 00000700
	buffer_load_dword v26, s[4:7], 0 offen lds                 // 0000000037CC: E0511000 8001001A
	ds_read_b128 a[72:75], v31 offset:13952                    // 0000000037D4: DBFE3680 4800001F
	ds_read_b128 a[76:79], v31 offset:14016                    // 0000000037DC: DBFE36C0 4C00001F
	v_mfma_f32_16x16x16_bf16 v[52:55], a[96:97], a[16:17], v[52:55]// 0000000037E4: D3E10034 1CD22160
	s_add_u32 m0, 0x800, s46                                   // 0000000037EC: 807C2EFF 00000800
	buffer_load_dword v27, s[4:7], 0 offen lds                 // 0000000037F4: E0511000 8001001B
	v_mfma_f32_16x16x16_bf16 v[52:55], a[98:99], a[18:19], v[52:55]// 0000000037FC: D3E10034 1CD22562
	s_add_u32 m0, 0x900, s46                                   // 000000003804: 807C2EFF 00000900
	buffer_load_dword v28, s[4:7], 0 offen lds                 // 00000000380C: E0511000 8001001C
	ds_read_b128 a[80:83], v31 offset:14464                    // 000000003814: DBFE3880 5000001F
	ds_read_b128 a[84:87], v31 offset:14528                    // 00000000381C: DBFE38C0 5400001F
	v_mfma_f32_16x16x16_bf16 v[52:55], a[100:101], a[20:21], v[52:55]// 000000003824: D3E10034 1CD22964
	s_add_u32 m0, 0xa00, s46                                   // 00000000382C: 807C2EFF 00000A00
	buffer_load_dword v29, s[4:7], 0 offen lds                 // 000000003834: E0511000 8001001D
	v_mfma_f32_16x16x16_bf16 v[52:55], a[102:103], a[22:23], v[52:55]// 00000000383C: D3E10034 1CD22D66
	s_add_u32 m0, 0xb00, s46                                   // 000000003844: 807C2EFF 00000B00
	buffer_load_dword v30, s[4:7], 0 offen lds                 // 00000000384C: E0511000 8001001E
	ds_read_b128 a[88:91], v31 offset:14976                    // 000000003854: DBFE3A80 5800001F
	ds_read_b128 a[92:95], v31 offset:15040                    // 00000000385C: DBFE3AC0 5C00001F
	v_mfma_f32_16x16x16_bf16 v[56:59], a[96:97], a[24:25], v[56:59]// 000000003864: D3E10038 1CE23160
	s_add_u32 s31, 0x100, s33                                  // 00000000386C: 801F21FF 00000100
	s_cmp_lt_u32 s31, s34                                      // 000000003874: BF0A221F
	s_cselect_b32 s44, s44, 0                                  // 000000003878: 852C802C
	s_add_u32 m0, 0, s49                                       // 00000000387C: 807C3180
	buffer_load_dword v32, s[8:11], 0 offen lds                // 000000003880: E0511000 80020020
	v_mfma_f32_16x16x16_bf16 v[56:59], a[98:99], a[26:27], v[56:59]// 000000003888: D3E10038 1CE23562
	s_add_u32 m0, 0x100, s49                                   // 000000003890: 807C31FF 00000100
	buffer_load_dword v33, s[8:11], 0 offen lds                // 000000003898: E0511000 80020021
	s_add_u32 s4, s44, s4                                      // 0000000038A0: 8004042C
	s_addc_u32 s5, 0, s5                                       // 0000000038A4: 82050580
	ds_read_b128 a[104:107], v40 offset:45568                  // 0000000038A8: DBFEB200 68000028
	ds_read_b128 a[108:111], v40 offset:45632                  // 0000000038B0: DBFEB240 6C000028
	v_mfma_f32_16x16x16_bf16 v[56:59], a[100:101], a[28:29], v[56:59]// 0000000038B8: D3E10038 1CE23964
	s_add_u32 m0, 0x200, s49                                   // 0000000038C0: 807C31FF 00000200
	buffer_load_dword v34, s[8:11], 0 offen lds                // 0000000038C8: E0511000 80020022
	v_mfma_f32_16x16x16_bf16 v[56:59], a[102:103], a[30:31], v[56:59]// 0000000038D0: D3E10038 1CE23D66
	s_add_u32 m0, 0x300, s49                                   // 0000000038D8: 807C31FF 00000300
	buffer_load_dword v35, s[8:11], 0 offen lds                // 0000000038E0: E0511000 80020023
	v_mfma_f32_16x16x16_bf16 v[60:63], a[96:97], a[32:33], v[60:63]// 0000000038E8: D3E1003C 1CF24160
	s_add_u32 m0, 0x400, s49                                   // 0000000038F0: 807C31FF 00000400
	buffer_load_dword v36, s[8:11], 0 offen lds                // 0000000038F8: E0511000 80020024
	v_mfma_f32_16x16x16_bf16 v[60:63], a[98:99], a[34:35], v[60:63]// 000000003900: D3E1003C 1CF24562
	s_add_u32 m0, 0x500, s49                                   // 000000003908: 807C31FF 00000500
	buffer_load_dword v37, s[8:11], 0 offen lds                // 000000003910: E0511000 80020025
	v_mfma_f32_16x16x16_bf16 v[60:63], a[100:101], a[36:37], v[60:63]// 000000003918: D3E1003C 1CF24964
	s_add_u32 m0, 0x600, s49                                   // 000000003920: 807C31FF 00000600
	buffer_load_dword v38, s[8:11], 0 offen lds                // 000000003928: E0511000 80020026
	v_mfma_f32_16x16x16_bf16 v[60:63], a[102:103], a[38:39], v[60:63]// 000000003930: D3E1003C 1CF24D66
	s_add_u32 m0, 0x700, s49                                   // 000000003938: 807C31FF 00000700
	buffer_load_dword v39, s[8:11], 0 offen lds                // 000000003940: E0511000 80020027
	v_mfma_f32_16x16x16_bf16 v[64:67], a[96:97], a[40:41], v[64:67]// 000000003948: D3E10040 1D025160
	s_add_u32 s31, 0x100, s33                                  // 000000003950: 801F21FF 00000100
	s_cmp_lt_u32 s31, s34                                      // 000000003958: BF0A221F
	s_cselect_b32 s45, s45, 0                                  // 00000000395C: 852D802D
	v_mfma_f32_16x16x16_bf16 v[64:67], a[98:99], a[42:43], v[64:67]// 000000003960: D3E10040 1D025562
	s_add_u32 s8, s45, s8                                      // 000000003968: 8008082D
	s_addc_u32 s9, 0, s9                                       // 00000000396C: 82090980
	v_mfma_f32_16x16x16_bf16 v[64:67], a[100:101], a[44:45], v[64:67]// 000000003970: D3E10040 1D025964
	v_mfma_f32_16x16x16_bf16 v[64:67], a[102:103], a[46:47], v[64:67]// 000000003978: D3E10040 1D025D66
	s_addk_i32 s33, 0x40                                       // 000000003980: B7210040
	s_cmp_lt_i32 s33, s34                                      // 000000003984: BF042221
	s_cbranch_scc0 label_0B3E                                  // 000000003988: BF84075B
	s_waitcnt vmcnt(20) lgkmcnt(0)                             // 00000000398C: BF8C4074
	s_barrier                                                  // 000000003990: BF8A0000
	v_mfma_f32_16x16x16_bf16 v[44:47], a[104:105], a[48:49], v[44:47]// 000000003994: D3E1002C 1CB26168
	s_add_u32 m0, 0, s47                                       // 00000000399C: 807C2F80
	buffer_load_dword v19, s[4:7], 0 offen lds                 // 0000000039A0: E0511000 80010013
	v_mfma_f32_16x16x16_bf16 v[44:47], a[106:107], a[50:51], v[44:47]// 0000000039A8: D3E1002C 1CB2656A
	s_add_u32 m0, 0x100, s47                                   // 0000000039B0: 807C2FFF 00000100
	buffer_load_dword v20, s[4:7], 0 offen lds                 // 0000000039B8: E0511000 80010014
	ds_read_b128 a[0:3], v31 offset:24832                      // 0000000039C0: DBFE6100 0000001F
	ds_read_b128 a[4:7], v31 offset:24896                      // 0000000039C8: DBFE6140 0400001F
	v_mfma_f32_16x16x16_bf16 v[44:47], a[108:109], a[52:53], v[44:47]// 0000000039D0: D3E1002C 1CB2696C
	s_add_u32 m0, 0x200, s47                                   // 0000000039D8: 807C2FFF 00000200
	buffer_load_dword v21, s[4:7], 0 offen lds                 // 0000000039E0: E0511000 80010015
	v_mfma_f32_16x16x16_bf16 v[44:47], a[110:111], a[54:55], v[44:47]// 0000000039E8: D3E1002C 1CB26D6E
	s_add_u32 m0, 0x300, s47                                   // 0000000039F0: 807C2FFF 00000300
	buffer_load_dword v22, s[4:7], 0 offen lds                 // 0000000039F8: E0511000 80010016
	ds_read_b128 a[8:11], v31 offset:25344                     // 000000003A00: DBFE6300 0800001F
	ds_read_b128 a[12:15], v31 offset:25408                    // 000000003A08: DBFE6340 0C00001F
	v_mfma_f32_16x16x16_bf16 v[48:51], a[104:105], a[56:57], v[48:51]// 000000003A10: D3E10030 1CC27168
	s_add_u32 m0, 0x400, s47                                   // 000000003A18: 807C2FFF 00000400
	buffer_load_dword v23, s[4:7], 0 offen lds                 // 000000003A20: E0511000 80010017
	v_mfma_f32_16x16x16_bf16 v[48:51], a[106:107], a[58:59], v[48:51]// 000000003A28: D3E10030 1CC2756A
	s_add_u32 m0, 0x500, s47                                   // 000000003A30: 807C2FFF 00000500
	buffer_load_dword v24, s[4:7], 0 offen lds                 // 000000003A38: E0511000 80010018
	ds_read_b128 a[16:19], v31 offset:25856                    // 000000003A40: DBFE6500 1000001F
	ds_read_b128 a[20:23], v31 offset:25920                    // 000000003A48: DBFE6540 1400001F
	v_mfma_f32_16x16x16_bf16 v[48:51], a[108:109], a[60:61], v[48:51]// 000000003A50: D3E10030 1CC2796C
	s_add_u32 m0, 0x600, s47                                   // 000000003A58: 807C2FFF 00000600
	buffer_load_dword v25, s[4:7], 0 offen lds                 // 000000003A60: E0511000 80010019
	v_mfma_f32_16x16x16_bf16 v[48:51], a[110:111], a[62:63], v[48:51]// 000000003A68: D3E10030 1CC27D6E
	s_add_u32 m0, 0x700, s47                                   // 000000003A70: 807C2FFF 00000700
	buffer_load_dword v26, s[4:7], 0 offen lds                 // 000000003A78: E0511000 8001001A
	ds_read_b128 a[24:27], v31 offset:26368                    // 000000003A80: DBFE6700 1800001F
	ds_read_b128 a[28:31], v31 offset:26432                    // 000000003A88: DBFE6740 1C00001F
	v_mfma_f32_16x16x16_bf16 v[52:55], a[104:105], a[64:65], v[52:55]// 000000003A90: D3E10034 1CD28168
	s_add_u32 m0, 0x800, s47                                   // 000000003A98: 807C2FFF 00000800
	buffer_load_dword v27, s[4:7], 0 offen lds                 // 000000003AA0: E0511000 8001001B
	v_mfma_f32_16x16x16_bf16 v[52:55], a[106:107], a[66:67], v[52:55]// 000000003AA8: D3E10034 1CD2856A
	s_add_u32 m0, 0x900, s47                                   // 000000003AB0: 807C2FFF 00000900
	buffer_load_dword v28, s[4:7], 0 offen lds                 // 000000003AB8: E0511000 8001001C
	ds_read_b128 a[32:35], v31 offset:26880                    // 000000003AC0: DBFE6900 2000001F
	ds_read_b128 a[36:39], v31 offset:26944                    // 000000003AC8: DBFE6940 2400001F
	v_mfma_f32_16x16x16_bf16 v[52:55], a[108:109], a[68:69], v[52:55]// 000000003AD0: D3E10034 1CD2896C
	s_add_u32 m0, 0xa00, s47                                   // 000000003AD8: 807C2FFF 00000A00
	buffer_load_dword v29, s[4:7], 0 offen lds                 // 000000003AE0: E0511000 8001001D
	v_mfma_f32_16x16x16_bf16 v[52:55], a[110:111], a[70:71], v[52:55]// 000000003AE8: D3E10034 1CD28D6E
	s_add_u32 m0, 0xb00, s47                                   // 000000003AF0: 807C2FFF 00000B00
	buffer_load_dword v30, s[4:7], 0 offen lds                 // 000000003AF8: E0511000 8001001E
	ds_read_b128 a[40:43], v31 offset:27392                    // 000000003B00: DBFE6B00 2800001F
	ds_read_b128 a[44:47], v31 offset:27456                    // 000000003B08: DBFE6B40 2C00001F
	v_mfma_f32_16x16x16_bf16 v[56:59], a[104:105], a[72:73], v[56:59]// 000000003B10: D3E10038 1CE29168
	s_add_u32 s31, 0x100, s33                                  // 000000003B18: 801F21FF 00000100
	s_cmp_lt_u32 s31, s34                                      // 000000003B20: BF0A221F
	s_cselect_b32 s44, s44, 0                                  // 000000003B24: 852C802C
	s_add_u32 m0, 0, s50                                       // 000000003B28: 807C3280
	buffer_load_dword v32, s[8:11], 0 offen lds                // 000000003B2C: E0511000 80020020
	v_mfma_f32_16x16x16_bf16 v[56:59], a[106:107], a[74:75], v[56:59]// 000000003B34: D3E10038 1CE2956A
	s_add_u32 m0, 0x100, s50                                   // 000000003B3C: 807C32FF 00000100
	buffer_load_dword v33, s[8:11], 0 offen lds                // 000000003B44: E0511000 80020021
	s_add_u32 s4, s44, s4                                      // 000000003B4C: 8004042C
	s_addc_u32 s5, 0, s5                                       // 000000003B50: 82050580
	ds_read_b128 a[96:99], v40 offset:53888                    // 000000003B54: DBFED280 60000028
	ds_read_b128 a[100:103], v40 offset:53952                  // 000000003B5C: DBFED2C0 64000028
	v_mfma_f32_16x16x16_bf16 v[56:59], a[108:109], a[76:77], v[56:59]// 000000003B64: D3E10038 1CE2996C
	s_add_u32 m0, 0x200, s50                                   // 000000003B6C: 807C32FF 00000200
	buffer_load_dword v34, s[8:11], 0 offen lds                // 000000003B74: E0511000 80020022
	v_mfma_f32_16x16x16_bf16 v[56:59], a[110:111], a[78:79], v[56:59]// 000000003B7C: D3E10038 1CE29D6E
	s_add_u32 m0, 0x300, s50                                   // 000000003B84: 807C32FF 00000300
	buffer_load_dword v35, s[8:11], 0 offen lds                // 000000003B8C: E0511000 80020023
	v_mfma_f32_16x16x16_bf16 v[60:63], a[104:105], a[80:81], v[60:63]// 000000003B94: D3E1003C 1CF2A168
	s_add_u32 m0, 0x400, s50                                   // 000000003B9C: 807C32FF 00000400
	buffer_load_dword v36, s[8:11], 0 offen lds                // 000000003BA4: E0511000 80020024
	v_mfma_f32_16x16x16_bf16 v[60:63], a[106:107], a[82:83], v[60:63]// 000000003BAC: D3E1003C 1CF2A56A
	s_add_u32 m0, 0x500, s50                                   // 000000003BB4: 807C32FF 00000500
	buffer_load_dword v37, s[8:11], 0 offen lds                // 000000003BBC: E0511000 80020025
	v_mfma_f32_16x16x16_bf16 v[60:63], a[108:109], a[84:85], v[60:63]// 000000003BC4: D3E1003C 1CF2A96C
	s_add_u32 m0, 0x600, s50                                   // 000000003BCC: 807C32FF 00000600
	buffer_load_dword v38, s[8:11], 0 offen lds                // 000000003BD4: E0511000 80020026
	v_mfma_f32_16x16x16_bf16 v[60:63], a[110:111], a[86:87], v[60:63]// 000000003BDC: D3E1003C 1CF2AD6E
	s_add_u32 m0, 0x700, s50                                   // 000000003BE4: 807C32FF 00000700
	buffer_load_dword v39, s[8:11], 0 offen lds                // 000000003BEC: E0511000 80020027
	v_mfma_f32_16x16x16_bf16 v[64:67], a[104:105], a[88:89], v[64:67]// 000000003BF4: D3E10040 1D02B168
	s_add_u32 s31, 0x100, s33                                  // 000000003BFC: 801F21FF 00000100
	s_cmp_lt_u32 s31, s34                                      // 000000003C04: BF0A221F
	s_cselect_b32 s45, s45, 0                                  // 000000003C08: 852D802D
	v_mfma_f32_16x16x16_bf16 v[64:67], a[106:107], a[90:91], v[64:67]// 000000003C0C: D3E10040 1D02B56A
	s_add_u32 s8, s45, s8                                      // 000000003C14: 8008082D
	s_addc_u32 s9, 0, s9                                       // 000000003C18: 82090980
	v_mfma_f32_16x16x16_bf16 v[64:67], a[108:109], a[92:93], v[64:67]// 000000003C1C: D3E10040 1D02B96C
	v_mfma_f32_16x16x16_bf16 v[64:67], a[110:111], a[94:95], v[64:67]// 000000003C24: D3E10040 1D02BD6E
	s_addk_i32 s33, 0x40                                       // 000000003C2C: B7210040
	s_cmp_lt_i32 s33, s34                                      // 000000003C30: BF042221
	s_cbranch_scc0 label_0B3E                                  // 000000003C34: BF8406B0
	s_waitcnt vmcnt(20) lgkmcnt(0)                             // 000000003C38: BF8C4074
	s_barrier                                                  // 000000003C3C: BF8A0000
	v_mfma_f32_16x16x16_bf16 v[44:47], a[96:97], a[0:1], v[44:47]// 000000003C40: D3E1002C 1CB20160
	s_add_u32 m0, 0, s48                                       // 000000003C48: 807C3080
	buffer_load_dword v19, s[4:7], 0 offen lds                 // 000000003C4C: E0511000 80010013
	v_mfma_f32_16x16x16_bf16 v[44:47], a[98:99], a[2:3], v[44:47]// 000000003C54: D3E1002C 1CB20562
	s_add_u32 m0, 0x100, s48                                   // 000000003C5C: 807C30FF 00000100
	buffer_load_dword v20, s[4:7], 0 offen lds                 // 000000003C64: E0511000 80010014
	ds_read_b128 a[48:51], v31                                 // 000000003C6C: DBFE0000 3000001F
	ds_read_b128 a[52:55], v31 offset:64                       // 000000003C74: DBFE0040 3400001F
	v_mfma_f32_16x16x16_bf16 v[44:47], a[100:101], a[4:5], v[44:47]// 000000003C7C: D3E1002C 1CB20964
	s_add_u32 m0, 0x200, s48                                   // 000000003C84: 807C30FF 00000200
	buffer_load_dword v21, s[4:7], 0 offen lds                 // 000000003C8C: E0511000 80010015
	v_mfma_f32_16x16x16_bf16 v[44:47], a[102:103], a[6:7], v[44:47]// 000000003C94: D3E1002C 1CB20D66
	s_add_u32 m0, 0x300, s48                                   // 000000003C9C: 807C30FF 00000300
	buffer_load_dword v22, s[4:7], 0 offen lds                 // 000000003CA4: E0511000 80010016
	ds_read_b128 a[56:59], v31 offset:512                      // 000000003CAC: DBFE0200 3800001F
	ds_read_b128 a[60:63], v31 offset:576                      // 000000003CB4: DBFE0240 3C00001F
	v_mfma_f32_16x16x16_bf16 v[48:51], a[96:97], a[8:9], v[48:51]// 000000003CBC: D3E10030 1CC21160
	s_add_u32 m0, 0x400, s48                                   // 000000003CC4: 807C30FF 00000400
	buffer_load_dword v23, s[4:7], 0 offen lds                 // 000000003CCC: E0511000 80010017
	v_mfma_f32_16x16x16_bf16 v[48:51], a[98:99], a[10:11], v[48:51]// 000000003CD4: D3E10030 1CC21562
	s_add_u32 m0, 0x500, s48                                   // 000000003CDC: 807C30FF 00000500
	buffer_load_dword v24, s[4:7], 0 offen lds                 // 000000003CE4: E0511000 80010018
	ds_read_b128 a[64:67], v31 offset:1024                     // 000000003CEC: DBFE0400 4000001F
	ds_read_b128 a[68:71], v31 offset:1088                     // 000000003CF4: DBFE0440 4400001F
	v_mfma_f32_16x16x16_bf16 v[48:51], a[100:101], a[12:13], v[48:51]// 000000003CFC: D3E10030 1CC21964
	s_add_u32 m0, 0x600, s48                                   // 000000003D04: 807C30FF 00000600
	buffer_load_dword v25, s[4:7], 0 offen lds                 // 000000003D0C: E0511000 80010019
	v_mfma_f32_16x16x16_bf16 v[48:51], a[102:103], a[14:15], v[48:51]// 000000003D14: D3E10030 1CC21D66
	s_add_u32 m0, 0x700, s48                                   // 000000003D1C: 807C30FF 00000700
	buffer_load_dword v26, s[4:7], 0 offen lds                 // 000000003D24: E0511000 8001001A
	ds_read_b128 a[72:75], v31 offset:1536                     // 000000003D2C: DBFE0600 4800001F
	ds_read_b128 a[76:79], v31 offset:1600                     // 000000003D34: DBFE0640 4C00001F
	v_mfma_f32_16x16x16_bf16 v[52:55], a[96:97], a[16:17], v[52:55]// 000000003D3C: D3E10034 1CD22160
	s_add_u32 m0, 0x800, s48                                   // 000000003D44: 807C30FF 00000800
	buffer_load_dword v27, s[4:7], 0 offen lds                 // 000000003D4C: E0511000 8001001B
	v_mfma_f32_16x16x16_bf16 v[52:55], a[98:99], a[18:19], v[52:55]// 000000003D54: D3E10034 1CD22562
	s_add_u32 m0, 0x900, s48                                   // 000000003D5C: 807C30FF 00000900
	buffer_load_dword v28, s[4:7], 0 offen lds                 // 000000003D64: E0511000 8001001C
	ds_read_b128 a[80:83], v31 offset:2048                     // 000000003D6C: DBFE0800 5000001F
	ds_read_b128 a[84:87], v31 offset:2112                     // 000000003D74: DBFE0840 5400001F
	v_mfma_f32_16x16x16_bf16 v[52:55], a[100:101], a[20:21], v[52:55]// 000000003D7C: D3E10034 1CD22964
	s_add_u32 m0, 0xa00, s48                                   // 000000003D84: 807C30FF 00000A00
	buffer_load_dword v29, s[4:7], 0 offen lds                 // 000000003D8C: E0511000 8001001D
	v_mfma_f32_16x16x16_bf16 v[52:55], a[102:103], a[22:23], v[52:55]// 000000003D94: D3E10034 1CD22D66
	s_add_u32 m0, 0xb00, s48                                   // 000000003D9C: 807C30FF 00000B00
	buffer_load_dword v30, s[4:7], 0 offen lds                 // 000000003DA4: E0511000 8001001E
	ds_read_b128 a[88:91], v31 offset:2560                     // 000000003DAC: DBFE0A00 5800001F
	ds_read_b128 a[92:95], v31 offset:2624                     // 000000003DB4: DBFE0A40 5C00001F
	v_mfma_f32_16x16x16_bf16 v[56:59], a[96:97], a[24:25], v[56:59]// 000000003DBC: D3E10038 1CE23160
	s_add_u32 s31, 0x100, s33                                  // 000000003DC4: 801F21FF 00000100
	s_cmp_lt_u32 s31, s34                                      // 000000003DCC: BF0A221F
	s_cselect_b32 s44, s44, 0                                  // 000000003DD0: 852C802C
	s_add_u32 m0, 0, s51                                       // 000000003DD4: 807C3380
	buffer_load_dword v32, s[8:11], 0 offen lds                // 000000003DD8: E0511000 80020020
	v_mfma_f32_16x16x16_bf16 v[56:59], a[98:99], a[26:27], v[56:59]// 000000003DE0: D3E10038 1CE23562
	s_add_u32 m0, 0x100, s51                                   // 000000003DE8: 807C33FF 00000100
	buffer_load_dword v33, s[8:11], 0 offen lds                // 000000003DF0: E0511000 80020021
	s_add_u32 s4, s44, s4                                      // 000000003DF8: 8004042C
	s_addc_u32 s5, 0, s5                                       // 000000003DFC: 82050580
	ds_read_b128 a[104:107], v40 offset:37248                  // 000000003E00: DBFE9180 68000028
	ds_read_b128 a[108:111], v40 offset:37312                  // 000000003E08: DBFE91C0 6C000028
	v_mfma_f32_16x16x16_bf16 v[56:59], a[100:101], a[28:29], v[56:59]// 000000003E10: D3E10038 1CE23964
	s_add_u32 m0, 0x200, s51                                   // 000000003E18: 807C33FF 00000200
	buffer_load_dword v34, s[8:11], 0 offen lds                // 000000003E20: E0511000 80020022
	v_mfma_f32_16x16x16_bf16 v[56:59], a[102:103], a[30:31], v[56:59]// 000000003E28: D3E10038 1CE23D66
	s_add_u32 m0, 0x300, s51                                   // 000000003E30: 807C33FF 00000300
	buffer_load_dword v35, s[8:11], 0 offen lds                // 000000003E38: E0511000 80020023
	v_mfma_f32_16x16x16_bf16 v[60:63], a[96:97], a[32:33], v[60:63]// 000000003E40: D3E1003C 1CF24160
	s_add_u32 m0, 0x400, s51                                   // 000000003E48: 807C33FF 00000400
	buffer_load_dword v36, s[8:11], 0 offen lds                // 000000003E50: E0511000 80020024
	v_mfma_f32_16x16x16_bf16 v[60:63], a[98:99], a[34:35], v[60:63]// 000000003E58: D3E1003C 1CF24562
	s_add_u32 m0, 0x500, s51                                   // 000000003E60: 807C33FF 00000500
	buffer_load_dword v37, s[8:11], 0 offen lds                // 000000003E68: E0511000 80020025
	v_mfma_f32_16x16x16_bf16 v[60:63], a[100:101], a[36:37], v[60:63]// 000000003E70: D3E1003C 1CF24964
	s_add_u32 m0, 0x600, s51                                   // 000000003E78: 807C33FF 00000600
	buffer_load_dword v38, s[8:11], 0 offen lds                // 000000003E80: E0511000 80020026
	v_mfma_f32_16x16x16_bf16 v[60:63], a[102:103], a[38:39], v[60:63]// 000000003E88: D3E1003C 1CF24D66
	s_add_u32 m0, 0x700, s51                                   // 000000003E90: 807C33FF 00000700
	buffer_load_dword v39, s[8:11], 0 offen lds                // 000000003E98: E0511000 80020027
	v_mfma_f32_16x16x16_bf16 v[64:67], a[96:97], a[40:41], v[64:67]// 000000003EA0: D3E10040 1D025160
	s_add_u32 s31, 0x100, s33                                  // 000000003EA8: 801F21FF 00000100
	s_cmp_lt_u32 s31, s34                                      // 000000003EB0: BF0A221F
	s_cselect_b32 s45, s45, 0                                  // 000000003EB4: 852D802D
	v_mfma_f32_16x16x16_bf16 v[64:67], a[98:99], a[42:43], v[64:67]// 000000003EB8: D3E10040 1D025562
	s_add_u32 s8, s45, s8                                      // 000000003EC0: 8008082D
	s_addc_u32 s9, 0, s9                                       // 000000003EC4: 82090980
	v_mfma_f32_16x16x16_bf16 v[64:67], a[100:101], a[44:45], v[64:67]// 000000003EC8: D3E10040 1D025964
	v_mfma_f32_16x16x16_bf16 v[64:67], a[102:103], a[46:47], v[64:67]// 000000003ED0: D3E10040 1D025D66
	s_addk_i32 s33, 0x40                                       // 000000003ED8: B7210040
	s_cmp_lt_i32 s33, s34                                      // 000000003EDC: BF042221
	s_cbranch_scc0 label_0B3E                                  // 000000003EE0: BF840605
	s_waitcnt vmcnt(20) lgkmcnt(0)                             // 000000003EE4: BF8C4074
	s_barrier                                                  // 000000003EE8: BF8A0000
	v_mfma_f32_16x16x16_bf16 v[44:47], a[104:105], a[48:49], v[44:47]// 000000003EEC: D3E1002C 1CB26168
	s_add_u32 m0, 0, s46                                       // 000000003EF4: 807C2E80
	buffer_load_dword v19, s[4:7], 0 offen lds                 // 000000003EF8: E0511000 80010013
	v_mfma_f32_16x16x16_bf16 v[44:47], a[106:107], a[50:51], v[44:47]// 000000003F00: D3E1002C 1CB2656A
	s_add_u32 m0, 0x100, s46                                   // 000000003F08: 807C2EFF 00000100
	buffer_load_dword v20, s[4:7], 0 offen lds                 // 000000003F10: E0511000 80010014
	ds_read_b128 a[0:3], v31 offset:12416                      // 000000003F18: DBFE3080 0000001F
	ds_read_b128 a[4:7], v31 offset:12480                      // 000000003F20: DBFE30C0 0400001F
	v_mfma_f32_16x16x16_bf16 v[44:47], a[108:109], a[52:53], v[44:47]// 000000003F28: D3E1002C 1CB2696C
	s_add_u32 m0, 0x200, s46                                   // 000000003F30: 807C2EFF 00000200
	buffer_load_dword v21, s[4:7], 0 offen lds                 // 000000003F38: E0511000 80010015
	v_mfma_f32_16x16x16_bf16 v[44:47], a[110:111], a[54:55], v[44:47]// 000000003F40: D3E1002C 1CB26D6E
	s_add_u32 m0, 0x300, s46                                   // 000000003F48: 807C2EFF 00000300
	buffer_load_dword v22, s[4:7], 0 offen lds                 // 000000003F50: E0511000 80010016
	ds_read_b128 a[8:11], v31 offset:12928                     // 000000003F58: DBFE3280 0800001F
	ds_read_b128 a[12:15], v31 offset:12992                    // 000000003F60: DBFE32C0 0C00001F
	v_mfma_f32_16x16x16_bf16 v[48:51], a[104:105], a[56:57], v[48:51]// 000000003F68: D3E10030 1CC27168
	s_add_u32 m0, 0x400, s46                                   // 000000003F70: 807C2EFF 00000400
	buffer_load_dword v23, s[4:7], 0 offen lds                 // 000000003F78: E0511000 80010017
	v_mfma_f32_16x16x16_bf16 v[48:51], a[106:107], a[58:59], v[48:51]// 000000003F80: D3E10030 1CC2756A
	s_add_u32 m0, 0x500, s46                                   // 000000003F88: 807C2EFF 00000500
	buffer_load_dword v24, s[4:7], 0 offen lds                 // 000000003F90: E0511000 80010018
	ds_read_b128 a[16:19], v31 offset:13440                    // 000000003F98: DBFE3480 1000001F
	ds_read_b128 a[20:23], v31 offset:13504                    // 000000003FA0: DBFE34C0 1400001F
	v_mfma_f32_16x16x16_bf16 v[48:51], a[108:109], a[60:61], v[48:51]// 000000003FA8: D3E10030 1CC2796C
	s_add_u32 m0, 0x600, s46                                   // 000000003FB0: 807C2EFF 00000600
	buffer_load_dword v25, s[4:7], 0 offen lds                 // 000000003FB8: E0511000 80010019
	v_mfma_f32_16x16x16_bf16 v[48:51], a[110:111], a[62:63], v[48:51]// 000000003FC0: D3E10030 1CC27D6E
	s_add_u32 m0, 0x700, s46                                   // 000000003FC8: 807C2EFF 00000700
	buffer_load_dword v26, s[4:7], 0 offen lds                 // 000000003FD0: E0511000 8001001A
	ds_read_b128 a[24:27], v31 offset:13952                    // 000000003FD8: DBFE3680 1800001F
	ds_read_b128 a[28:31], v31 offset:14016                    // 000000003FE0: DBFE36C0 1C00001F
	v_mfma_f32_16x16x16_bf16 v[52:55], a[104:105], a[64:65], v[52:55]// 000000003FE8: D3E10034 1CD28168
	s_add_u32 m0, 0x800, s46                                   // 000000003FF0: 807C2EFF 00000800
	buffer_load_dword v27, s[4:7], 0 offen lds                 // 000000003FF8: E0511000 8001001B
	v_mfma_f32_16x16x16_bf16 v[52:55], a[106:107], a[66:67], v[52:55]// 000000004000: D3E10034 1CD2856A
	s_add_u32 m0, 0x900, s46                                   // 000000004008: 807C2EFF 00000900
	buffer_load_dword v28, s[4:7], 0 offen lds                 // 000000004010: E0511000 8001001C
	ds_read_b128 a[32:35], v31 offset:14464                    // 000000004018: DBFE3880 2000001F
	ds_read_b128 a[36:39], v31 offset:14528                    // 000000004020: DBFE38C0 2400001F
	v_mfma_f32_16x16x16_bf16 v[52:55], a[108:109], a[68:69], v[52:55]// 000000004028: D3E10034 1CD2896C
	s_add_u32 m0, 0xa00, s46                                   // 000000004030: 807C2EFF 00000A00
	buffer_load_dword v29, s[4:7], 0 offen lds                 // 000000004038: E0511000 8001001D
	v_mfma_f32_16x16x16_bf16 v[52:55], a[110:111], a[70:71], v[52:55]// 000000004040: D3E10034 1CD28D6E
	s_add_u32 m0, 0xb00, s46                                   // 000000004048: 807C2EFF 00000B00
	buffer_load_dword v30, s[4:7], 0 offen lds                 // 000000004050: E0511000 8001001E
	ds_read_b128 a[40:43], v31 offset:14976                    // 000000004058: DBFE3A80 2800001F
	ds_read_b128 a[44:47], v31 offset:15040                    // 000000004060: DBFE3AC0 2C00001F
	v_mfma_f32_16x16x16_bf16 v[56:59], a[104:105], a[72:73], v[56:59]// 000000004068: D3E10038 1CE29168
	s_add_u32 s31, 0x100, s33                                  // 000000004070: 801F21FF 00000100
	s_cmp_lt_u32 s31, s34                                      // 000000004078: BF0A221F
	s_cselect_b32 s44, s44, 0                                  // 00000000407C: 852C802C
	s_add_u32 m0, 0, s49                                       // 000000004080: 807C3180
	buffer_load_dword v32, s[8:11], 0 offen lds                // 000000004084: E0511000 80020020
	v_mfma_f32_16x16x16_bf16 v[56:59], a[106:107], a[74:75], v[56:59]// 00000000408C: D3E10038 1CE2956A
	s_add_u32 m0, 0x100, s49                                   // 000000004094: 807C31FF 00000100
	buffer_load_dword v33, s[8:11], 0 offen lds                // 00000000409C: E0511000 80020021
	s_add_u32 s4, s44, s4                                      // 0000000040A4: 8004042C
	s_addc_u32 s5, 0, s5                                       // 0000000040A8: 82050580
	ds_read_b128 a[96:99], v40 offset:45568                    // 0000000040AC: DBFEB200 60000028
	ds_read_b128 a[100:103], v40 offset:45632                  // 0000000040B4: DBFEB240 64000028
	v_mfma_f32_16x16x16_bf16 v[56:59], a[108:109], a[76:77], v[56:59]// 0000000040BC: D3E10038 1CE2996C
	s_add_u32 m0, 0x200, s49                                   // 0000000040C4: 807C31FF 00000200
	buffer_load_dword v34, s[8:11], 0 offen lds                // 0000000040CC: E0511000 80020022
	v_mfma_f32_16x16x16_bf16 v[56:59], a[110:111], a[78:79], v[56:59]// 0000000040D4: D3E10038 1CE29D6E
	s_add_u32 m0, 0x300, s49                                   // 0000000040DC: 807C31FF 00000300
	buffer_load_dword v35, s[8:11], 0 offen lds                // 0000000040E4: E0511000 80020023
	v_mfma_f32_16x16x16_bf16 v[60:63], a[104:105], a[80:81], v[60:63]// 0000000040EC: D3E1003C 1CF2A168
	s_add_u32 m0, 0x400, s49                                   // 0000000040F4: 807C31FF 00000400
	buffer_load_dword v36, s[8:11], 0 offen lds                // 0000000040FC: E0511000 80020024
	v_mfma_f32_16x16x16_bf16 v[60:63], a[106:107], a[82:83], v[60:63]// 000000004104: D3E1003C 1CF2A56A
	s_add_u32 m0, 0x500, s49                                   // 00000000410C: 807C31FF 00000500
	buffer_load_dword v37, s[8:11], 0 offen lds                // 000000004114: E0511000 80020025
	v_mfma_f32_16x16x16_bf16 v[60:63], a[108:109], a[84:85], v[60:63]// 00000000411C: D3E1003C 1CF2A96C
	s_add_u32 m0, 0x600, s49                                   // 000000004124: 807C31FF 00000600
	buffer_load_dword v38, s[8:11], 0 offen lds                // 00000000412C: E0511000 80020026
	v_mfma_f32_16x16x16_bf16 v[60:63], a[110:111], a[86:87], v[60:63]// 000000004134: D3E1003C 1CF2AD6E
	s_add_u32 m0, 0x700, s49                                   // 00000000413C: 807C31FF 00000700
	buffer_load_dword v39, s[8:11], 0 offen lds                // 000000004144: E0511000 80020027
	v_mfma_f32_16x16x16_bf16 v[64:67], a[104:105], a[88:89], v[64:67]// 00000000414C: D3E10040 1D02B168
	s_add_u32 s31, 0x100, s33                                  // 000000004154: 801F21FF 00000100
	s_cmp_lt_u32 s31, s34                                      // 00000000415C: BF0A221F
	s_cselect_b32 s45, s45, 0                                  // 000000004160: 852D802D
	v_mfma_f32_16x16x16_bf16 v[64:67], a[106:107], a[90:91], v[64:67]// 000000004164: D3E10040 1D02B56A
	s_add_u32 s8, s45, s8                                      // 00000000416C: 8008082D
	s_addc_u32 s9, 0, s9                                       // 000000004170: 82090980
	v_mfma_f32_16x16x16_bf16 v[64:67], a[108:109], a[92:93], v[64:67]// 000000004174: D3E10040 1D02B96C
	v_mfma_f32_16x16x16_bf16 v[64:67], a[110:111], a[94:95], v[64:67]// 00000000417C: D3E10040 1D02BD6E
	s_addk_i32 s33, 0x40                                       // 000000004184: B7210040
	s_cmp_lt_i32 s33, s34                                      // 000000004188: BF042221
	s_cbranch_scc0 label_0B3E                                  // 00000000418C: BF84055A
	s_waitcnt vmcnt(20) lgkmcnt(0)                             // 000000004190: BF8C4074
	s_barrier                                                  // 000000004194: BF8A0000
	v_mfma_f32_16x16x16_bf16 v[44:47], a[96:97], a[0:1], v[44:47]// 000000004198: D3E1002C 1CB20160
	s_add_u32 m0, 0, s47                                       // 0000000041A0: 807C2F80
	buffer_load_dword v19, s[4:7], 0 offen lds                 // 0000000041A4: E0511000 80010013
	v_mfma_f32_16x16x16_bf16 v[44:47], a[98:99], a[2:3], v[44:47]// 0000000041AC: D3E1002C 1CB20562
	s_add_u32 m0, 0x100, s47                                   // 0000000041B4: 807C2FFF 00000100
	buffer_load_dword v20, s[4:7], 0 offen lds                 // 0000000041BC: E0511000 80010014
	ds_read_b128 a[48:51], v31 offset:24832                    // 0000000041C4: DBFE6100 3000001F
	ds_read_b128 a[52:55], v31 offset:24896                    // 0000000041CC: DBFE6140 3400001F
	v_mfma_f32_16x16x16_bf16 v[44:47], a[100:101], a[4:5], v[44:47]// 0000000041D4: D3E1002C 1CB20964
	s_add_u32 m0, 0x200, s47                                   // 0000000041DC: 807C2FFF 00000200
	buffer_load_dword v21, s[4:7], 0 offen lds                 // 0000000041E4: E0511000 80010015
	v_mfma_f32_16x16x16_bf16 v[44:47], a[102:103], a[6:7], v[44:47]// 0000000041EC: D3E1002C 1CB20D66
	s_add_u32 m0, 0x300, s47                                   // 0000000041F4: 807C2FFF 00000300
	buffer_load_dword v22, s[4:7], 0 offen lds                 // 0000000041FC: E0511000 80010016
	ds_read_b128 a[56:59], v31 offset:25344                    // 000000004204: DBFE6300 3800001F
	ds_read_b128 a[60:63], v31 offset:25408                    // 00000000420C: DBFE6340 3C00001F
	v_mfma_f32_16x16x16_bf16 v[48:51], a[96:97], a[8:9], v[48:51]// 000000004214: D3E10030 1CC21160
	s_add_u32 m0, 0x400, s47                                   // 00000000421C: 807C2FFF 00000400
	buffer_load_dword v23, s[4:7], 0 offen lds                 // 000000004224: E0511000 80010017
	v_mfma_f32_16x16x16_bf16 v[48:51], a[98:99], a[10:11], v[48:51]// 00000000422C: D3E10030 1CC21562
	s_add_u32 m0, 0x500, s47                                   // 000000004234: 807C2FFF 00000500
	buffer_load_dword v24, s[4:7], 0 offen lds                 // 00000000423C: E0511000 80010018
	ds_read_b128 a[64:67], v31 offset:25856                    // 000000004244: DBFE6500 4000001F
	ds_read_b128 a[68:71], v31 offset:25920                    // 00000000424C: DBFE6540 4400001F
	v_mfma_f32_16x16x16_bf16 v[48:51], a[100:101], a[12:13], v[48:51]// 000000004254: D3E10030 1CC21964
	s_add_u32 m0, 0x600, s47                                   // 00000000425C: 807C2FFF 00000600
	buffer_load_dword v25, s[4:7], 0 offen lds                 // 000000004264: E0511000 80010019
	v_mfma_f32_16x16x16_bf16 v[48:51], a[102:103], a[14:15], v[48:51]// 00000000426C: D3E10030 1CC21D66
	s_add_u32 m0, 0x700, s47                                   // 000000004274: 807C2FFF 00000700
	buffer_load_dword v26, s[4:7], 0 offen lds                 // 00000000427C: E0511000 8001001A
	ds_read_b128 a[72:75], v31 offset:26368                    // 000000004284: DBFE6700 4800001F
	ds_read_b128 a[76:79], v31 offset:26432                    // 00000000428C: DBFE6740 4C00001F
	v_mfma_f32_16x16x16_bf16 v[52:55], a[96:97], a[16:17], v[52:55]// 000000004294: D3E10034 1CD22160
	s_add_u32 m0, 0x800, s47                                   // 00000000429C: 807C2FFF 00000800
	buffer_load_dword v27, s[4:7], 0 offen lds                 // 0000000042A4: E0511000 8001001B
	v_mfma_f32_16x16x16_bf16 v[52:55], a[98:99], a[18:19], v[52:55]// 0000000042AC: D3E10034 1CD22562
	s_add_u32 m0, 0x900, s47                                   // 0000000042B4: 807C2FFF 00000900
	buffer_load_dword v28, s[4:7], 0 offen lds                 // 0000000042BC: E0511000 8001001C
	ds_read_b128 a[80:83], v31 offset:26880                    // 0000000042C4: DBFE6900 5000001F
	ds_read_b128 a[84:87], v31 offset:26944                    // 0000000042CC: DBFE6940 5400001F
	v_mfma_f32_16x16x16_bf16 v[52:55], a[100:101], a[20:21], v[52:55]// 0000000042D4: D3E10034 1CD22964
	s_add_u32 m0, 0xa00, s47                                   // 0000000042DC: 807C2FFF 00000A00
	buffer_load_dword v29, s[4:7], 0 offen lds                 // 0000000042E4: E0511000 8001001D
	v_mfma_f32_16x16x16_bf16 v[52:55], a[102:103], a[22:23], v[52:55]// 0000000042EC: D3E10034 1CD22D66
	s_add_u32 m0, 0xb00, s47                                   // 0000000042F4: 807C2FFF 00000B00
	buffer_load_dword v30, s[4:7], 0 offen lds                 // 0000000042FC: E0511000 8001001E
	ds_read_b128 a[88:91], v31 offset:27392                    // 000000004304: DBFE6B00 5800001F
	ds_read_b128 a[92:95], v31 offset:27456                    // 00000000430C: DBFE6B40 5C00001F
	v_mfma_f32_16x16x16_bf16 v[56:59], a[96:97], a[24:25], v[56:59]// 000000004314: D3E10038 1CE23160
	s_add_u32 s31, 0x100, s33                                  // 00000000431C: 801F21FF 00000100
	s_cmp_lt_u32 s31, s34                                      // 000000004324: BF0A221F
	s_cselect_b32 s44, s44, 0                                  // 000000004328: 852C802C
	s_add_u32 m0, 0, s50                                       // 00000000432C: 807C3280
	buffer_load_dword v32, s[8:11], 0 offen lds                // 000000004330: E0511000 80020020
	v_mfma_f32_16x16x16_bf16 v[56:59], a[98:99], a[26:27], v[56:59]// 000000004338: D3E10038 1CE23562
	s_add_u32 m0, 0x100, s50                                   // 000000004340: 807C32FF 00000100
	buffer_load_dword v33, s[8:11], 0 offen lds                // 000000004348: E0511000 80020021
	s_add_u32 s4, s44, s4                                      // 000000004350: 8004042C
	s_addc_u32 s5, 0, s5                                       // 000000004354: 82050580
	ds_read_b128 a[104:107], v40 offset:53888                  // 000000004358: DBFED280 68000028
	ds_read_b128 a[108:111], v40 offset:53952                  // 000000004360: DBFED2C0 6C000028
	v_mfma_f32_16x16x16_bf16 v[56:59], a[100:101], a[28:29], v[56:59]// 000000004368: D3E10038 1CE23964
	s_add_u32 m0, 0x200, s50                                   // 000000004370: 807C32FF 00000200
	buffer_load_dword v34, s[8:11], 0 offen lds                // 000000004378: E0511000 80020022
	v_mfma_f32_16x16x16_bf16 v[56:59], a[102:103], a[30:31], v[56:59]// 000000004380: D3E10038 1CE23D66
	s_add_u32 m0, 0x300, s50                                   // 000000004388: 807C32FF 00000300
	buffer_load_dword v35, s[8:11], 0 offen lds                // 000000004390: E0511000 80020023
	v_mfma_f32_16x16x16_bf16 v[60:63], a[96:97], a[32:33], v[60:63]// 000000004398: D3E1003C 1CF24160
	s_add_u32 m0, 0x400, s50                                   // 0000000043A0: 807C32FF 00000400
	buffer_load_dword v36, s[8:11], 0 offen lds                // 0000000043A8: E0511000 80020024
	v_mfma_f32_16x16x16_bf16 v[60:63], a[98:99], a[34:35], v[60:63]// 0000000043B0: D3E1003C 1CF24562
	s_add_u32 m0, 0x500, s50                                   // 0000000043B8: 807C32FF 00000500
	buffer_load_dword v37, s[8:11], 0 offen lds                // 0000000043C0: E0511000 80020025
	v_mfma_f32_16x16x16_bf16 v[60:63], a[100:101], a[36:37], v[60:63]// 0000000043C8: D3E1003C 1CF24964
	s_add_u32 m0, 0x600, s50                                   // 0000000043D0: 807C32FF 00000600
	buffer_load_dword v38, s[8:11], 0 offen lds                // 0000000043D8: E0511000 80020026
	v_mfma_f32_16x16x16_bf16 v[60:63], a[102:103], a[38:39], v[60:63]// 0000000043E0: D3E1003C 1CF24D66
	s_add_u32 m0, 0x700, s50                                   // 0000000043E8: 807C32FF 00000700
	buffer_load_dword v39, s[8:11], 0 offen lds                // 0000000043F0: E0511000 80020027
	v_mfma_f32_16x16x16_bf16 v[64:67], a[96:97], a[40:41], v[64:67]// 0000000043F8: D3E10040 1D025160
	s_add_u32 s31, 0x100, s33                                  // 000000004400: 801F21FF 00000100
	s_cmp_lt_u32 s31, s34                                      // 000000004408: BF0A221F
	s_cselect_b32 s45, s45, 0                                  // 00000000440C: 852D802D
	v_mfma_f32_16x16x16_bf16 v[64:67], a[98:99], a[42:43], v[64:67]// 000000004410: D3E10040 1D025562
	s_add_u32 s8, s45, s8                                      // 000000004418: 8008082D
	s_addc_u32 s9, 0, s9                                       // 00000000441C: 82090980
	v_mfma_f32_16x16x16_bf16 v[64:67], a[100:101], a[44:45], v[64:67]// 000000004420: D3E10040 1D025964
	v_mfma_f32_16x16x16_bf16 v[64:67], a[102:103], a[46:47], v[64:67]// 000000004428: D3E10040 1D025D66
	s_addk_i32 s33, 0x40                                       // 000000004430: B7210040
	s_cmp_lt_i32 s33, s34                                      // 000000004434: BF042221
	s_cbranch_scc0 label_0B3E                                  // 000000004438: BF8404AF
	s_waitcnt vmcnt(20) lgkmcnt(0)                             // 00000000443C: BF8C4074
	s_barrier                                                  // 000000004440: BF8A0000
	v_mfma_f32_16x16x16_bf16 v[44:47], a[104:105], a[48:49], v[44:47]// 000000004444: D3E1002C 1CB26168
	s_add_u32 m0, 0, s48                                       // 00000000444C: 807C3080
	buffer_load_dword v19, s[4:7], 0 offen lds                 // 000000004450: E0511000 80010013
	v_mfma_f32_16x16x16_bf16 v[44:47], a[106:107], a[50:51], v[44:47]// 000000004458: D3E1002C 1CB2656A
	s_add_u32 m0, 0x100, s48                                   // 000000004460: 807C30FF 00000100
	buffer_load_dword v20, s[4:7], 0 offen lds                 // 000000004468: E0511000 80010014
	ds_read_b128 a[0:3], v31                                   // 000000004470: DBFE0000 0000001F
	ds_read_b128 a[4:7], v31 offset:64                         // 000000004478: DBFE0040 0400001F
	v_mfma_f32_16x16x16_bf16 v[44:47], a[108:109], a[52:53], v[44:47]// 000000004480: D3E1002C 1CB2696C
	s_add_u32 m0, 0x200, s48                                   // 000000004488: 807C30FF 00000200
	buffer_load_dword v21, s[4:7], 0 offen lds                 // 000000004490: E0511000 80010015
	v_mfma_f32_16x16x16_bf16 v[44:47], a[110:111], a[54:55], v[44:47]// 000000004498: D3E1002C 1CB26D6E
	s_add_u32 m0, 0x300, s48                                   // 0000000044A0: 807C30FF 00000300
	buffer_load_dword v22, s[4:7], 0 offen lds                 // 0000000044A8: E0511000 80010016
	ds_read_b128 a[8:11], v31 offset:512                       // 0000000044B0: DBFE0200 0800001F
	ds_read_b128 a[12:15], v31 offset:576                      // 0000000044B8: DBFE0240 0C00001F
	v_mfma_f32_16x16x16_bf16 v[48:51], a[104:105], a[56:57], v[48:51]// 0000000044C0: D3E10030 1CC27168
	s_add_u32 m0, 0x400, s48                                   // 0000000044C8: 807C30FF 00000400
	buffer_load_dword v23, s[4:7], 0 offen lds                 // 0000000044D0: E0511000 80010017
	v_mfma_f32_16x16x16_bf16 v[48:51], a[106:107], a[58:59], v[48:51]// 0000000044D8: D3E10030 1CC2756A
	s_add_u32 m0, 0x500, s48                                   // 0000000044E0: 807C30FF 00000500
	buffer_load_dword v24, s[4:7], 0 offen lds                 // 0000000044E8: E0511000 80010018
	ds_read_b128 a[16:19], v31 offset:1024                     // 0000000044F0: DBFE0400 1000001F
	ds_read_b128 a[20:23], v31 offset:1088                     // 0000000044F8: DBFE0440 1400001F
	v_mfma_f32_16x16x16_bf16 v[48:51], a[108:109], a[60:61], v[48:51]// 000000004500: D3E10030 1CC2796C
	s_add_u32 m0, 0x600, s48                                   // 000000004508: 807C30FF 00000600
	buffer_load_dword v25, s[4:7], 0 offen lds                 // 000000004510: E0511000 80010019
	v_mfma_f32_16x16x16_bf16 v[48:51], a[110:111], a[62:63], v[48:51]// 000000004518: D3E10030 1CC27D6E
	s_add_u32 m0, 0x700, s48                                   // 000000004520: 807C30FF 00000700
	buffer_load_dword v26, s[4:7], 0 offen lds                 // 000000004528: E0511000 8001001A
	ds_read_b128 a[24:27], v31 offset:1536                     // 000000004530: DBFE0600 1800001F
	ds_read_b128 a[28:31], v31 offset:1600                     // 000000004538: DBFE0640 1C00001F
	v_mfma_f32_16x16x16_bf16 v[52:55], a[104:105], a[64:65], v[52:55]// 000000004540: D3E10034 1CD28168
	s_add_u32 m0, 0x800, s48                                   // 000000004548: 807C30FF 00000800
	buffer_load_dword v27, s[4:7], 0 offen lds                 // 000000004550: E0511000 8001001B
	v_mfma_f32_16x16x16_bf16 v[52:55], a[106:107], a[66:67], v[52:55]// 000000004558: D3E10034 1CD2856A
	s_add_u32 m0, 0x900, s48                                   // 000000004560: 807C30FF 00000900
	buffer_load_dword v28, s[4:7], 0 offen lds                 // 000000004568: E0511000 8001001C
	ds_read_b128 a[32:35], v31 offset:2048                     // 000000004570: DBFE0800 2000001F
	ds_read_b128 a[36:39], v31 offset:2112                     // 000000004578: DBFE0840 2400001F
	v_mfma_f32_16x16x16_bf16 v[52:55], a[108:109], a[68:69], v[52:55]// 000000004580: D3E10034 1CD2896C
	s_add_u32 m0, 0xa00, s48                                   // 000000004588: 807C30FF 00000A00
	buffer_load_dword v29, s[4:7], 0 offen lds                 // 000000004590: E0511000 8001001D
	v_mfma_f32_16x16x16_bf16 v[52:55], a[110:111], a[70:71], v[52:55]// 000000004598: D3E10034 1CD28D6E
	s_add_u32 m0, 0xb00, s48                                   // 0000000045A0: 807C30FF 00000B00
	buffer_load_dword v30, s[4:7], 0 offen lds                 // 0000000045A8: E0511000 8001001E
	ds_read_b128 a[40:43], v31 offset:2560                     // 0000000045B0: DBFE0A00 2800001F
	ds_read_b128 a[44:47], v31 offset:2624                     // 0000000045B8: DBFE0A40 2C00001F
	v_mfma_f32_16x16x16_bf16 v[56:59], a[104:105], a[72:73], v[56:59]// 0000000045C0: D3E10038 1CE29168
	s_add_u32 s31, 0x100, s33                                  // 0000000045C8: 801F21FF 00000100
	s_cmp_lt_u32 s31, s34                                      // 0000000045D0: BF0A221F
	s_cselect_b32 s44, s44, 0                                  // 0000000045D4: 852C802C
	s_add_u32 m0, 0, s51                                       // 0000000045D8: 807C3380
	buffer_load_dword v32, s[8:11], 0 offen lds                // 0000000045DC: E0511000 80020020
	v_mfma_f32_16x16x16_bf16 v[56:59], a[106:107], a[74:75], v[56:59]// 0000000045E4: D3E10038 1CE2956A
	s_add_u32 m0, 0x100, s51                                   // 0000000045EC: 807C33FF 00000100
	buffer_load_dword v33, s[8:11], 0 offen lds                // 0000000045F4: E0511000 80020021
	s_add_u32 s4, s44, s4                                      // 0000000045FC: 8004042C
	s_addc_u32 s5, 0, s5                                       // 000000004600: 82050580
	ds_read_b128 a[96:99], v40 offset:37248                    // 000000004604: DBFE9180 60000028
	ds_read_b128 a[100:103], v40 offset:37312                  // 00000000460C: DBFE91C0 64000028
	v_mfma_f32_16x16x16_bf16 v[56:59], a[108:109], a[76:77], v[56:59]// 000000004614: D3E10038 1CE2996C
	s_add_u32 m0, 0x200, s51                                   // 00000000461C: 807C33FF 00000200
	buffer_load_dword v34, s[8:11], 0 offen lds                // 000000004624: E0511000 80020022
	v_mfma_f32_16x16x16_bf16 v[56:59], a[110:111], a[78:79], v[56:59]// 00000000462C: D3E10038 1CE29D6E
	s_add_u32 m0, 0x300, s51                                   // 000000004634: 807C33FF 00000300
	buffer_load_dword v35, s[8:11], 0 offen lds                // 00000000463C: E0511000 80020023
	v_mfma_f32_16x16x16_bf16 v[60:63], a[104:105], a[80:81], v[60:63]// 000000004644: D3E1003C 1CF2A168
	s_add_u32 m0, 0x400, s51                                   // 00000000464C: 807C33FF 00000400
	buffer_load_dword v36, s[8:11], 0 offen lds                // 000000004654: E0511000 80020024
	v_mfma_f32_16x16x16_bf16 v[60:63], a[106:107], a[82:83], v[60:63]// 00000000465C: D3E1003C 1CF2A56A
	s_add_u32 m0, 0x500, s51                                   // 000000004664: 807C33FF 00000500
	buffer_load_dword v37, s[8:11], 0 offen lds                // 00000000466C: E0511000 80020025
	v_mfma_f32_16x16x16_bf16 v[60:63], a[108:109], a[84:85], v[60:63]// 000000004674: D3E1003C 1CF2A96C
	s_add_u32 m0, 0x600, s51                                   // 00000000467C: 807C33FF 00000600
	buffer_load_dword v38, s[8:11], 0 offen lds                // 000000004684: E0511000 80020026
	v_mfma_f32_16x16x16_bf16 v[60:63], a[110:111], a[86:87], v[60:63]// 00000000468C: D3E1003C 1CF2AD6E
	s_add_u32 m0, 0x700, s51                                   // 000000004694: 807C33FF 00000700
	buffer_load_dword v39, s[8:11], 0 offen lds                // 00000000469C: E0511000 80020027
	v_mfma_f32_16x16x16_bf16 v[64:67], a[104:105], a[88:89], v[64:67]// 0000000046A4: D3E10040 1D02B168
	s_add_u32 s31, 0x100, s33                                  // 0000000046AC: 801F21FF 00000100
	s_cmp_lt_u32 s31, s34                                      // 0000000046B4: BF0A221F
	s_cselect_b32 s45, s45, 0                                  // 0000000046B8: 852D802D
	v_mfma_f32_16x16x16_bf16 v[64:67], a[106:107], a[90:91], v[64:67]// 0000000046BC: D3E10040 1D02B56A
	s_add_u32 s8, s45, s8                                      // 0000000046C4: 8008082D
	s_addc_u32 s9, 0, s9                                       // 0000000046C8: 82090980
	v_mfma_f32_16x16x16_bf16 v[64:67], a[108:109], a[92:93], v[64:67]// 0000000046CC: D3E10040 1D02B96C
	v_mfma_f32_16x16x16_bf16 v[64:67], a[110:111], a[94:95], v[64:67]// 0000000046D4: D3E10040 1D02BD6E
	s_addk_i32 s33, 0x40                                       // 0000000046DC: B7210040
	s_cmp_lt_i32 s33, s34                                      // 0000000046E0: BF042221
	s_cbranch_scc0 label_0B3E                                  // 0000000046E4: BF840404
	s_branch label_0338                                        // 0000000046E8: BF82FBFD

00000000000046ec <label_073B>:
	s_waitcnt vmcnt(20) lgkmcnt(0)                             // 0000000046EC: BF8C4074
	s_barrier                                                  // 0000000046F0: BF8A0000
	v_mfma_f32_16x16x16_bf16 v[44:47], a[96:97], a[0:1], v[44:47]// 0000000046F4: D3E1002C 1CB20160
	s_add_u32 m0, 0, s46                                       // 0000000046FC: 807C2E80
	buffer_load_dword v19, s[4:7], 0 offen lds                 // 000000004700: E0511000 80010013
	ds_read_b128 a[48:51], v31 offset:12416                    // 000000004708: DBFE3080 3000001F
	ds_read_b128 a[52:55], v31 offset:12480                    // 000000004710: DBFE30C0 3400001F
	v_mfma_f32_16x16x16_bf16 v[44:47], a[98:99], a[2:3], v[44:47]// 000000004718: D3E1002C 1CB20562
	s_add_u32 m0, 0x100, s46                                   // 000000004720: 807C2EFF 00000100
	buffer_load_dword v20, s[4:7], 0 offen lds                 // 000000004728: E0511000 80010014
	v_mfma_f32_16x16x16_bf16 v[44:47], a[100:101], a[4:5], v[44:47]// 000000004730: D3E1002C 1CB20964
	s_add_u32 m0, 0x200, s46                                   // 000000004738: 807C2EFF 00000200
	buffer_load_dword v21, s[4:7], 0 offen lds                 // 000000004740: E0511000 80010015
	ds_read_b128 a[56:59], v31 offset:12928                    // 000000004748: DBFE3280 3800001F
	ds_read_b128 a[60:63], v31 offset:12992                    // 000000004750: DBFE32C0 3C00001F
	v_mfma_f32_16x16x16_bf16 v[44:47], a[102:103], a[6:7], v[44:47]// 000000004758: D3E1002C 1CB20D66
	s_add_u32 m0, 0x300, s46                                   // 000000004760: 807C2EFF 00000300
	buffer_load_dword v22, s[4:7], 0 offen lds                 // 000000004768: E0511000 80010016
	v_mfma_f32_16x16x16_bf16 v[48:51], a[96:97], a[8:9], v[48:51]// 000000004770: D3E10030 1CC21160
	s_add_u32 m0, 0x400, s46                                   // 000000004778: 807C2EFF 00000400
	buffer_load_dword v23, s[4:7], 0 offen lds                 // 000000004780: E0511000 80010017
	ds_read_b128 a[64:67], v31 offset:13440                    // 000000004788: DBFE3480 4000001F
	ds_read_b128 a[68:71], v31 offset:13504                    // 000000004790: DBFE34C0 4400001F
	v_mfma_f32_16x16x16_bf16 v[48:51], a[98:99], a[10:11], v[48:51]// 000000004798: D3E10030 1CC21562
	s_add_u32 m0, 0x500, s46                                   // 0000000047A0: 807C2EFF 00000500
	buffer_load_dword v24, s[4:7], 0 offen lds                 // 0000000047A8: E0511000 80010018
	v_mfma_f32_16x16x16_bf16 v[48:51], a[100:101], a[12:13], v[48:51]// 0000000047B0: D3E10030 1CC21964
	s_add_u32 m0, 0x600, s46                                   // 0000000047B8: 807C2EFF 00000600
	buffer_load_dword v25, s[4:7], 0 offen lds                 // 0000000047C0: E0511000 80010019
	ds_read_b128 a[72:75], v31 offset:13952                    // 0000000047C8: DBFE3680 4800001F
	ds_read_b128 a[76:79], v31 offset:14016                    // 0000000047D0: DBFE36C0 4C00001F
	v_mfma_f32_16x16x16_bf16 v[48:51], a[102:103], a[14:15], v[48:51]// 0000000047D8: D3E10030 1CC21D66
	s_add_u32 m0, 0x700, s46                                   // 0000000047E0: 807C2EFF 00000700
	buffer_load_dword v26, s[4:7], 0 offen lds                 // 0000000047E8: E0511000 8001001A
	v_mfma_f32_16x16x16_bf16 v[52:55], a[96:97], a[16:17], v[52:55]// 0000000047F0: D3E10034 1CD22160
	s_add_u32 m0, 0x800, s46                                   // 0000000047F8: 807C2EFF 00000800
	buffer_load_dword v27, s[4:7], 0 offen lds                 // 000000004800: E0511000 8001001B
	ds_read_b128 a[80:83], v31 offset:14464                    // 000000004808: DBFE3880 5000001F
	ds_read_b128 a[84:87], v31 offset:14528                    // 000000004810: DBFE38C0 5400001F
	v_mfma_f32_16x16x16_bf16 v[52:55], a[98:99], a[18:19], v[52:55]// 000000004818: D3E10034 1CD22562
	s_add_u32 m0, 0x900, s46                                   // 000000004820: 807C2EFF 00000900
	buffer_load_dword v28, s[4:7], 0 offen lds                 // 000000004828: E0511000 8001001C
	v_mfma_f32_16x16x16_bf16 v[52:55], a[100:101], a[20:21], v[52:55]// 000000004830: D3E10034 1CD22964
	s_add_u32 m0, 0xa00, s46                                   // 000000004838: 807C2EFF 00000A00
	buffer_load_dword v29, s[4:7], 0 offen lds                 // 000000004840: E0511000 8001001D
	ds_read_b128 a[88:91], v31 offset:14976                    // 000000004848: DBFE3A80 5800001F
	ds_read_b128 a[92:95], v31 offset:15040                    // 000000004850: DBFE3AC0 5C00001F
	v_mfma_f32_16x16x16_bf16 v[52:55], a[102:103], a[22:23], v[52:55]// 000000004858: D3E10034 1CD22D66
	s_add_u32 m0, 0xb00, s46                                   // 000000004860: 807C2EFF 00000B00
	buffer_load_dword v30, s[4:7], 0 offen lds                 // 000000004868: E0511000 8001001E
	v_mfma_f32_16x16x16_bf16 v[56:59], a[96:97], a[24:25], v[56:59]// 000000004870: D3E10038 1CE23160
	s_add_u32 s31, 0x100, s33                                  // 000000004878: 801F21FF 00000100
	s_cmp_lt_u32 s31, s34                                      // 000000004880: BF0A221F
	s_cselect_b32 s44, s44, 0                                  // 000000004884: 852C802C
	s_add_u32 m0, 0, s49                                       // 000000004888: 807C3180
	buffer_load_dword v32, s[8:11], 0 offen lds                // 00000000488C: E0511000 80020020
	s_add_u32 s4, s44, s4                                      // 000000004894: 8004042C
	s_addc_u32 s5, 0, s5                                       // 000000004898: 82050580
	ds_read_b128 a[104:107], v40 offset:45568                  // 00000000489C: DBFEB200 68000028
	ds_read_b128 a[108:111], v40 offset:45632                  // 0000000048A4: DBFEB240 6C000028
	v_mfma_f32_16x16x16_bf16 v[56:59], a[98:99], a[26:27], v[56:59]// 0000000048AC: D3E10038 1CE23562
	s_add_u32 m0, 0x100, s49                                   // 0000000048B4: 807C31FF 00000100
	buffer_load_dword v33, s[8:11], 0 offen lds                // 0000000048BC: E0511000 80020021
	v_mfma_f32_16x16x16_bf16 v[56:59], a[100:101], a[28:29], v[56:59]// 0000000048C4: D3E10038 1CE23964
	s_add_u32 m0, 0x200, s49                                   // 0000000048CC: 807C31FF 00000200
	buffer_load_dword v34, s[8:11], 0 offen lds                // 0000000048D4: E0511000 80020022
	v_mfma_f32_16x16x16_bf16 v[56:59], a[102:103], a[30:31], v[56:59]// 0000000048DC: D3E10038 1CE23D66
	s_add_u32 m0, 0x300, s49                                   // 0000000048E4: 807C31FF 00000300
	buffer_load_dword v35, s[8:11], 0 offen lds                // 0000000048EC: E0511000 80020023
	v_mfma_f32_16x16x16_bf16 v[60:63], a[96:97], a[32:33], v[60:63]// 0000000048F4: D3E1003C 1CF24160
	s_add_u32 m0, 0x400, s49                                   // 0000000048FC: 807C31FF 00000400
	buffer_load_dword v36, s[8:11], 0 offen lds                // 000000004904: E0511000 80020024
	v_mfma_f32_16x16x16_bf16 v[60:63], a[98:99], a[34:35], v[60:63]// 00000000490C: D3E1003C 1CF24562
	s_add_u32 m0, 0x500, s49                                   // 000000004914: 807C31FF 00000500
	buffer_load_dword v37, s[8:11], 0 offen lds                // 00000000491C: E0511000 80020025
	v_mfma_f32_16x16x16_bf16 v[60:63], a[100:101], a[36:37], v[60:63]// 000000004924: D3E1003C 1CF24964
	s_add_u32 m0, 0x600, s49                                   // 00000000492C: 807C31FF 00000600
	buffer_load_dword v38, s[8:11], 0 offen lds                // 000000004934: E0511000 80020026
	v_mfma_f32_16x16x16_bf16 v[60:63], a[102:103], a[38:39], v[60:63]// 00000000493C: D3E1003C 1CF24D66
	s_add_u32 m0, 0x700, s49                                   // 000000004944: 807C31FF 00000700
	buffer_load_dword v39, s[8:11], 0 offen lds                // 00000000494C: E0511000 80020027
	v_mfma_f32_16x16x16_bf16 v[64:67], a[96:97], a[40:41], v[64:67]// 000000004954: D3E10040 1D025160
	s_add_u32 s31, 0x100, s33                                  // 00000000495C: 801F21FF 00000100
	s_cmp_lt_u32 s31, s34                                      // 000000004964: BF0A221F
	s_cselect_b32 s45, s45, 0                                  // 000000004968: 852D802D
	s_add_u32 s8, s45, s8                                      // 00000000496C: 8008082D
	s_addc_u32 s9, 0, s9                                       // 000000004970: 82090980
	v_mfma_f32_16x16x16_bf16 v[64:67], a[98:99], a[42:43], v[64:67]// 000000004974: D3E10040 1D025562
	v_mfma_f32_16x16x16_bf16 v[64:67], a[100:101], a[44:45], v[64:67]// 00000000497C: D3E10040 1D025964
	v_mfma_f32_16x16x16_bf16 v[64:67], a[102:103], a[46:47], v[64:67]// 000000004984: D3E10040 1D025D66
	s_addk_i32 s33, 0x40                                       // 00000000498C: B7210040
	s_cmp_lt_i32 s33, s34                                      // 000000004990: BF042221
	s_cbranch_scc0 label_0B3E                                  // 000000004994: BF840358
	s_waitcnt vmcnt(20) lgkmcnt(0)                             // 000000004998: BF8C4074
	s_barrier                                                  // 00000000499C: BF8A0000
	v_mfma_f32_16x16x16_bf16 v[44:47], a[104:105], a[48:49], v[44:47]// 0000000049A0: D3E1002C 1CB26168
	s_add_u32 m0, 0, s47                                       // 0000000049A8: 807C2F80
	buffer_load_dword v19, s[4:7], 0 offen lds                 // 0000000049AC: E0511000 80010013
	ds_read_b128 a[0:3], v31 offset:24832                      // 0000000049B4: DBFE6100 0000001F
	ds_read_b128 a[4:7], v31 offset:24896                      // 0000000049BC: DBFE6140 0400001F
	v_mfma_f32_16x16x16_bf16 v[44:47], a[106:107], a[50:51], v[44:47]// 0000000049C4: D3E1002C 1CB2656A
	s_add_u32 m0, 0x100, s47                                   // 0000000049CC: 807C2FFF 00000100
	buffer_load_dword v20, s[4:7], 0 offen lds                 // 0000000049D4: E0511000 80010014
	v_mfma_f32_16x16x16_bf16 v[44:47], a[108:109], a[52:53], v[44:47]// 0000000049DC: D3E1002C 1CB2696C
	s_add_u32 m0, 0x200, s47                                   // 0000000049E4: 807C2FFF 00000200
	buffer_load_dword v21, s[4:7], 0 offen lds                 // 0000000049EC: E0511000 80010015
	ds_read_b128 a[8:11], v31 offset:25344                     // 0000000049F4: DBFE6300 0800001F
	ds_read_b128 a[12:15], v31 offset:25408                    // 0000000049FC: DBFE6340 0C00001F
	v_mfma_f32_16x16x16_bf16 v[44:47], a[110:111], a[54:55], v[44:47]// 000000004A04: D3E1002C 1CB26D6E
	s_add_u32 m0, 0x300, s47                                   // 000000004A0C: 807C2FFF 00000300
	buffer_load_dword v22, s[4:7], 0 offen lds                 // 000000004A14: E0511000 80010016
	v_mfma_f32_16x16x16_bf16 v[48:51], a[104:105], a[56:57], v[48:51]// 000000004A1C: D3E10030 1CC27168
	s_add_u32 m0, 0x400, s47                                   // 000000004A24: 807C2FFF 00000400
	buffer_load_dword v23, s[4:7], 0 offen lds                 // 000000004A2C: E0511000 80010017
	ds_read_b128 a[16:19], v31 offset:25856                    // 000000004A34: DBFE6500 1000001F
	ds_read_b128 a[20:23], v31 offset:25920                    // 000000004A3C: DBFE6540 1400001F
	v_mfma_f32_16x16x16_bf16 v[48:51], a[106:107], a[58:59], v[48:51]// 000000004A44: D3E10030 1CC2756A
	s_add_u32 m0, 0x500, s47                                   // 000000004A4C: 807C2FFF 00000500
	buffer_load_dword v24, s[4:7], 0 offen lds                 // 000000004A54: E0511000 80010018
	v_mfma_f32_16x16x16_bf16 v[48:51], a[108:109], a[60:61], v[48:51]// 000000004A5C: D3E10030 1CC2796C
	s_add_u32 m0, 0x600, s47                                   // 000000004A64: 807C2FFF 00000600
	buffer_load_dword v25, s[4:7], 0 offen lds                 // 000000004A6C: E0511000 80010019
	ds_read_b128 a[24:27], v31 offset:26368                    // 000000004A74: DBFE6700 1800001F
	ds_read_b128 a[28:31], v31 offset:26432                    // 000000004A7C: DBFE6740 1C00001F
	v_mfma_f32_16x16x16_bf16 v[48:51], a[110:111], a[62:63], v[48:51]// 000000004A84: D3E10030 1CC27D6E
	s_add_u32 m0, 0x700, s47                                   // 000000004A8C: 807C2FFF 00000700
	buffer_load_dword v26, s[4:7], 0 offen lds                 // 000000004A94: E0511000 8001001A
	v_mfma_f32_16x16x16_bf16 v[52:55], a[104:105], a[64:65], v[52:55]// 000000004A9C: D3E10034 1CD28168
	s_add_u32 m0, 0x800, s47                                   // 000000004AA4: 807C2FFF 00000800
	buffer_load_dword v27, s[4:7], 0 offen lds                 // 000000004AAC: E0511000 8001001B
	ds_read_b128 a[32:35], v31 offset:26880                    // 000000004AB4: DBFE6900 2000001F
	ds_read_b128 a[36:39], v31 offset:26944                    // 000000004ABC: DBFE6940 2400001F
	v_mfma_f32_16x16x16_bf16 v[52:55], a[106:107], a[66:67], v[52:55]// 000000004AC4: D3E10034 1CD2856A
	s_add_u32 m0, 0x900, s47                                   // 000000004ACC: 807C2FFF 00000900
	buffer_load_dword v28, s[4:7], 0 offen lds                 // 000000004AD4: E0511000 8001001C
	v_mfma_f32_16x16x16_bf16 v[52:55], a[108:109], a[68:69], v[52:55]// 000000004ADC: D3E10034 1CD2896C
	s_add_u32 m0, 0xa00, s47                                   // 000000004AE4: 807C2FFF 00000A00
	buffer_load_dword v29, s[4:7], 0 offen lds                 // 000000004AEC: E0511000 8001001D
	ds_read_b128 a[40:43], v31 offset:27392                    // 000000004AF4: DBFE6B00 2800001F
	ds_read_b128 a[44:47], v31 offset:27456                    // 000000004AFC: DBFE6B40 2C00001F
	v_mfma_f32_16x16x16_bf16 v[52:55], a[110:111], a[70:71], v[52:55]// 000000004B04: D3E10034 1CD28D6E
	s_add_u32 m0, 0xb00, s47                                   // 000000004B0C: 807C2FFF 00000B00
	buffer_load_dword v30, s[4:7], 0 offen lds                 // 000000004B14: E0511000 8001001E
	v_mfma_f32_16x16x16_bf16 v[56:59], a[104:105], a[72:73], v[56:59]// 000000004B1C: D3E10038 1CE29168
	s_add_u32 s31, 0x100, s33                                  // 000000004B24: 801F21FF 00000100
	s_cmp_lt_u32 s31, s34                                      // 000000004B2C: BF0A221F
	s_cselect_b32 s44, s44, 0                                  // 000000004B30: 852C802C
	s_add_u32 m0, 0, s50                                       // 000000004B34: 807C3280
	buffer_load_dword v32, s[8:11], 0 offen lds                // 000000004B38: E0511000 80020020
	s_add_u32 s4, s44, s4                                      // 000000004B40: 8004042C
	s_addc_u32 s5, 0, s5                                       // 000000004B44: 82050580
	ds_read_b128 a[96:99], v40 offset:53888                    // 000000004B48: DBFED280 60000028
	ds_read_b128 a[100:103], v40 offset:53952                  // 000000004B50: DBFED2C0 64000028
	v_mfma_f32_16x16x16_bf16 v[56:59], a[106:107], a[74:75], v[56:59]// 000000004B58: D3E10038 1CE2956A
	s_add_u32 m0, 0x100, s50                                   // 000000004B60: 807C32FF 00000100
	buffer_load_dword v33, s[8:11], 0 offen lds                // 000000004B68: E0511000 80020021
	v_mfma_f32_16x16x16_bf16 v[56:59], a[108:109], a[76:77], v[56:59]// 000000004B70: D3E10038 1CE2996C
	s_add_u32 m0, 0x200, s50                                   // 000000004B78: 807C32FF 00000200
	buffer_load_dword v34, s[8:11], 0 offen lds                // 000000004B80: E0511000 80020022
	v_mfma_f32_16x16x16_bf16 v[56:59], a[110:111], a[78:79], v[56:59]// 000000004B88: D3E10038 1CE29D6E
	s_add_u32 m0, 0x300, s50                                   // 000000004B90: 807C32FF 00000300
	buffer_load_dword v35, s[8:11], 0 offen lds                // 000000004B98: E0511000 80020023
	v_mfma_f32_16x16x16_bf16 v[60:63], a[104:105], a[80:81], v[60:63]// 000000004BA0: D3E1003C 1CF2A168
	s_add_u32 m0, 0x400, s50                                   // 000000004BA8: 807C32FF 00000400
	buffer_load_dword v36, s[8:11], 0 offen lds                // 000000004BB0: E0511000 80020024
	v_mfma_f32_16x16x16_bf16 v[60:63], a[106:107], a[82:83], v[60:63]// 000000004BB8: D3E1003C 1CF2A56A
	s_add_u32 m0, 0x500, s50                                   // 000000004BC0: 807C32FF 00000500
	buffer_load_dword v37, s[8:11], 0 offen lds                // 000000004BC8: E0511000 80020025
	v_mfma_f32_16x16x16_bf16 v[60:63], a[108:109], a[84:85], v[60:63]// 000000004BD0: D3E1003C 1CF2A96C
	s_add_u32 m0, 0x600, s50                                   // 000000004BD8: 807C32FF 00000600
	buffer_load_dword v38, s[8:11], 0 offen lds                // 000000004BE0: E0511000 80020026
	v_mfma_f32_16x16x16_bf16 v[60:63], a[110:111], a[86:87], v[60:63]// 000000004BE8: D3E1003C 1CF2AD6E
	s_add_u32 m0, 0x700, s50                                   // 000000004BF0: 807C32FF 00000700
	buffer_load_dword v39, s[8:11], 0 offen lds                // 000000004BF8: E0511000 80020027
	v_mfma_f32_16x16x16_bf16 v[64:67], a[104:105], a[88:89], v[64:67]// 000000004C00: D3E10040 1D02B168
	s_add_u32 s31, 0x100, s33                                  // 000000004C08: 801F21FF 00000100
	s_cmp_lt_u32 s31, s34                                      // 000000004C10: BF0A221F
	s_cselect_b32 s45, s45, 0                                  // 000000004C14: 852D802D
	s_add_u32 s8, s45, s8                                      // 000000004C18: 8008082D
	s_addc_u32 s9, 0, s9                                       // 000000004C1C: 82090980
	v_mfma_f32_16x16x16_bf16 v[64:67], a[106:107], a[90:91], v[64:67]// 000000004C20: D3E10040 1D02B56A
	v_mfma_f32_16x16x16_bf16 v[64:67], a[108:109], a[92:93], v[64:67]// 000000004C28: D3E10040 1D02B96C
	v_mfma_f32_16x16x16_bf16 v[64:67], a[110:111], a[94:95], v[64:67]// 000000004C30: D3E10040 1D02BD6E
	s_addk_i32 s33, 0x40                                       // 000000004C38: B7210040
	s_cmp_lt_i32 s33, s34                                      // 000000004C3C: BF042221
	s_cbranch_scc0 label_0B3E                                  // 000000004C40: BF8402AD
	s_waitcnt vmcnt(20) lgkmcnt(0)                             // 000000004C44: BF8C4074
	s_barrier                                                  // 000000004C48: BF8A0000
	v_mfma_f32_16x16x16_bf16 v[44:47], a[96:97], a[0:1], v[44:47]// 000000004C4C: D3E1002C 1CB20160
	s_add_u32 m0, 0, s48                                       // 000000004C54: 807C3080
	buffer_load_dword v19, s[4:7], 0 offen lds                 // 000000004C58: E0511000 80010013
	ds_read_b128 a[48:51], v31                                 // 000000004C60: DBFE0000 3000001F
	ds_read_b128 a[52:55], v31 offset:64                       // 000000004C68: DBFE0040 3400001F
	v_mfma_f32_16x16x16_bf16 v[44:47], a[98:99], a[2:3], v[44:47]// 000000004C70: D3E1002C 1CB20562
	s_add_u32 m0, 0x100, s48                                   // 000000004C78: 807C30FF 00000100
	buffer_load_dword v20, s[4:7], 0 offen lds                 // 000000004C80: E0511000 80010014
	v_mfma_f32_16x16x16_bf16 v[44:47], a[100:101], a[4:5], v[44:47]// 000000004C88: D3E1002C 1CB20964
	s_add_u32 m0, 0x200, s48                                   // 000000004C90: 807C30FF 00000200
	buffer_load_dword v21, s[4:7], 0 offen lds                 // 000000004C98: E0511000 80010015
	ds_read_b128 a[56:59], v31 offset:512                      // 000000004CA0: DBFE0200 3800001F
	ds_read_b128 a[60:63], v31 offset:576                      // 000000004CA8: DBFE0240 3C00001F
	v_mfma_f32_16x16x16_bf16 v[44:47], a[102:103], a[6:7], v[44:47]// 000000004CB0: D3E1002C 1CB20D66
	s_add_u32 m0, 0x300, s48                                   // 000000004CB8: 807C30FF 00000300
	buffer_load_dword v22, s[4:7], 0 offen lds                 // 000000004CC0: E0511000 80010016
	v_mfma_f32_16x16x16_bf16 v[48:51], a[96:97], a[8:9], v[48:51]// 000000004CC8: D3E10030 1CC21160
	s_add_u32 m0, 0x400, s48                                   // 000000004CD0: 807C30FF 00000400
	buffer_load_dword v23, s[4:7], 0 offen lds                 // 000000004CD8: E0511000 80010017
	ds_read_b128 a[64:67], v31 offset:1024                     // 000000004CE0: DBFE0400 4000001F
	ds_read_b128 a[68:71], v31 offset:1088                     // 000000004CE8: DBFE0440 4400001F
	v_mfma_f32_16x16x16_bf16 v[48:51], a[98:99], a[10:11], v[48:51]// 000000004CF0: D3E10030 1CC21562
	s_add_u32 m0, 0x500, s48                                   // 000000004CF8: 807C30FF 00000500
	buffer_load_dword v24, s[4:7], 0 offen lds                 // 000000004D00: E0511000 80010018
	v_mfma_f32_16x16x16_bf16 v[48:51], a[100:101], a[12:13], v[48:51]// 000000004D08: D3E10030 1CC21964
	s_add_u32 m0, 0x600, s48                                   // 000000004D10: 807C30FF 00000600
	buffer_load_dword v25, s[4:7], 0 offen lds                 // 000000004D18: E0511000 80010019
	ds_read_b128 a[72:75], v31 offset:1536                     // 000000004D20: DBFE0600 4800001F
	ds_read_b128 a[76:79], v31 offset:1600                     // 000000004D28: DBFE0640 4C00001F
	v_mfma_f32_16x16x16_bf16 v[48:51], a[102:103], a[14:15], v[48:51]// 000000004D30: D3E10030 1CC21D66
	s_add_u32 m0, 0x700, s48                                   // 000000004D38: 807C30FF 00000700
	buffer_load_dword v26, s[4:7], 0 offen lds                 // 000000004D40: E0511000 8001001A
	v_mfma_f32_16x16x16_bf16 v[52:55], a[96:97], a[16:17], v[52:55]// 000000004D48: D3E10034 1CD22160
	s_add_u32 m0, 0x800, s48                                   // 000000004D50: 807C30FF 00000800
	buffer_load_dword v27, s[4:7], 0 offen lds                 // 000000004D58: E0511000 8001001B
	ds_read_b128 a[80:83], v31 offset:2048                     // 000000004D60: DBFE0800 5000001F
	ds_read_b128 a[84:87], v31 offset:2112                     // 000000004D68: DBFE0840 5400001F
	v_mfma_f32_16x16x16_bf16 v[52:55], a[98:99], a[18:19], v[52:55]// 000000004D70: D3E10034 1CD22562
	s_add_u32 m0, 0x900, s48                                   // 000000004D78: 807C30FF 00000900
	buffer_load_dword v28, s[4:7], 0 offen lds                 // 000000004D80: E0511000 8001001C
	v_mfma_f32_16x16x16_bf16 v[52:55], a[100:101], a[20:21], v[52:55]// 000000004D88: D3E10034 1CD22964
	s_add_u32 m0, 0xa00, s48                                   // 000000004D90: 807C30FF 00000A00
	buffer_load_dword v29, s[4:7], 0 offen lds                 // 000000004D98: E0511000 8001001D
	ds_read_b128 a[88:91], v31 offset:2560                     // 000000004DA0: DBFE0A00 5800001F
	ds_read_b128 a[92:95], v31 offset:2624                     // 000000004DA8: DBFE0A40 5C00001F
	v_mfma_f32_16x16x16_bf16 v[52:55], a[102:103], a[22:23], v[52:55]// 000000004DB0: D3E10034 1CD22D66
	s_add_u32 m0, 0xb00, s48                                   // 000000004DB8: 807C30FF 00000B00
	buffer_load_dword v30, s[4:7], 0 offen lds                 // 000000004DC0: E0511000 8001001E
	v_mfma_f32_16x16x16_bf16 v[56:59], a[96:97], a[24:25], v[56:59]// 000000004DC8: D3E10038 1CE23160
	s_add_u32 s31, 0x100, s33                                  // 000000004DD0: 801F21FF 00000100
	s_cmp_lt_u32 s31, s34                                      // 000000004DD8: BF0A221F
	s_cselect_b32 s44, s44, 0                                  // 000000004DDC: 852C802C
	s_add_u32 m0, 0, s51                                       // 000000004DE0: 807C3380
	buffer_load_dword v32, s[8:11], 0 offen lds                // 000000004DE4: E0511000 80020020
	s_add_u32 s4, s44, s4                                      // 000000004DEC: 8004042C
	s_addc_u32 s5, 0, s5                                       // 000000004DF0: 82050580
	ds_read_b128 a[104:107], v40 offset:37248                  // 000000004DF4: DBFE9180 68000028
	ds_read_b128 a[108:111], v40 offset:37312                  // 000000004DFC: DBFE91C0 6C000028
	v_mfma_f32_16x16x16_bf16 v[56:59], a[98:99], a[26:27], v[56:59]// 000000004E04: D3E10038 1CE23562
	s_add_u32 m0, 0x100, s51                                   // 000000004E0C: 807C33FF 00000100
	buffer_load_dword v33, s[8:11], 0 offen lds                // 000000004E14: E0511000 80020021
	v_mfma_f32_16x16x16_bf16 v[56:59], a[100:101], a[28:29], v[56:59]// 000000004E1C: D3E10038 1CE23964
	s_add_u32 m0, 0x200, s51                                   // 000000004E24: 807C33FF 00000200
	buffer_load_dword v34, s[8:11], 0 offen lds                // 000000004E2C: E0511000 80020022
	v_mfma_f32_16x16x16_bf16 v[56:59], a[102:103], a[30:31], v[56:59]// 000000004E34: D3E10038 1CE23D66
	s_add_u32 m0, 0x300, s51                                   // 000000004E3C: 807C33FF 00000300
	buffer_load_dword v35, s[8:11], 0 offen lds                // 000000004E44: E0511000 80020023
	v_mfma_f32_16x16x16_bf16 v[60:63], a[96:97], a[32:33], v[60:63]// 000000004E4C: D3E1003C 1CF24160
	s_add_u32 m0, 0x400, s51                                   // 000000004E54: 807C33FF 00000400
	buffer_load_dword v36, s[8:11], 0 offen lds                // 000000004E5C: E0511000 80020024
	v_mfma_f32_16x16x16_bf16 v[60:63], a[98:99], a[34:35], v[60:63]// 000000004E64: D3E1003C 1CF24562
	s_add_u32 m0, 0x500, s51                                   // 000000004E6C: 807C33FF 00000500
	buffer_load_dword v37, s[8:11], 0 offen lds                // 000000004E74: E0511000 80020025
	v_mfma_f32_16x16x16_bf16 v[60:63], a[100:101], a[36:37], v[60:63]// 000000004E7C: D3E1003C 1CF24964
	s_add_u32 m0, 0x600, s51                                   // 000000004E84: 807C33FF 00000600
	buffer_load_dword v38, s[8:11], 0 offen lds                // 000000004E8C: E0511000 80020026
	v_mfma_f32_16x16x16_bf16 v[60:63], a[102:103], a[38:39], v[60:63]// 000000004E94: D3E1003C 1CF24D66
	s_add_u32 m0, 0x700, s51                                   // 000000004E9C: 807C33FF 00000700
	buffer_load_dword v39, s[8:11], 0 offen lds                // 000000004EA4: E0511000 80020027
	v_mfma_f32_16x16x16_bf16 v[64:67], a[96:97], a[40:41], v[64:67]// 000000004EAC: D3E10040 1D025160
	s_add_u32 s31, 0x100, s33                                  // 000000004EB4: 801F21FF 00000100
	s_cmp_lt_u32 s31, s34                                      // 000000004EBC: BF0A221F
	s_cselect_b32 s45, s45, 0                                  // 000000004EC0: 852D802D
	s_add_u32 s8, s45, s8                                      // 000000004EC4: 8008082D
	s_addc_u32 s9, 0, s9                                       // 000000004EC8: 82090980
	v_mfma_f32_16x16x16_bf16 v[64:67], a[98:99], a[42:43], v[64:67]// 000000004ECC: D3E10040 1D025562
	v_mfma_f32_16x16x16_bf16 v[64:67], a[100:101], a[44:45], v[64:67]// 000000004ED4: D3E10040 1D025964
	v_mfma_f32_16x16x16_bf16 v[64:67], a[102:103], a[46:47], v[64:67]// 000000004EDC: D3E10040 1D025D66
	s_addk_i32 s33, 0x40                                       // 000000004EE4: B7210040
	s_cmp_lt_i32 s33, s34                                      // 000000004EE8: BF042221
	s_cbranch_scc0 label_0B3E                                  // 000000004EEC: BF840202
	s_waitcnt vmcnt(20) lgkmcnt(0)                             // 000000004EF0: BF8C4074
	s_barrier                                                  // 000000004EF4: BF8A0000
	v_mfma_f32_16x16x16_bf16 v[44:47], a[104:105], a[48:49], v[44:47]// 000000004EF8: D3E1002C 1CB26168
	s_add_u32 m0, 0, s46                                       // 000000004F00: 807C2E80
	buffer_load_dword v19, s[4:7], 0 offen lds                 // 000000004F04: E0511000 80010013
	ds_read_b128 a[0:3], v31 offset:12416                      // 000000004F0C: DBFE3080 0000001F
	ds_read_b128 a[4:7], v31 offset:12480                      // 000000004F14: DBFE30C0 0400001F
	v_mfma_f32_16x16x16_bf16 v[44:47], a[106:107], a[50:51], v[44:47]// 000000004F1C: D3E1002C 1CB2656A
	s_add_u32 m0, 0x100, s46                                   // 000000004F24: 807C2EFF 00000100
	buffer_load_dword v20, s[4:7], 0 offen lds                 // 000000004F2C: E0511000 80010014
	v_mfma_f32_16x16x16_bf16 v[44:47], a[108:109], a[52:53], v[44:47]// 000000004F34: D3E1002C 1CB2696C
	s_add_u32 m0, 0x200, s46                                   // 000000004F3C: 807C2EFF 00000200
	buffer_load_dword v21, s[4:7], 0 offen lds                 // 000000004F44: E0511000 80010015
	ds_read_b128 a[8:11], v31 offset:12928                     // 000000004F4C: DBFE3280 0800001F
	ds_read_b128 a[12:15], v31 offset:12992                    // 000000004F54: DBFE32C0 0C00001F
	v_mfma_f32_16x16x16_bf16 v[44:47], a[110:111], a[54:55], v[44:47]// 000000004F5C: D3E1002C 1CB26D6E
	s_add_u32 m0, 0x300, s46                                   // 000000004F64: 807C2EFF 00000300
	buffer_load_dword v22, s[4:7], 0 offen lds                 // 000000004F6C: E0511000 80010016
	v_mfma_f32_16x16x16_bf16 v[48:51], a[104:105], a[56:57], v[48:51]// 000000004F74: D3E10030 1CC27168
	s_add_u32 m0, 0x400, s46                                   // 000000004F7C: 807C2EFF 00000400
	buffer_load_dword v23, s[4:7], 0 offen lds                 // 000000004F84: E0511000 80010017
	ds_read_b128 a[16:19], v31 offset:13440                    // 000000004F8C: DBFE3480 1000001F
	ds_read_b128 a[20:23], v31 offset:13504                    // 000000004F94: DBFE34C0 1400001F
	v_mfma_f32_16x16x16_bf16 v[48:51], a[106:107], a[58:59], v[48:51]// 000000004F9C: D3E10030 1CC2756A
	s_add_u32 m0, 0x500, s46                                   // 000000004FA4: 807C2EFF 00000500
	buffer_load_dword v24, s[4:7], 0 offen lds                 // 000000004FAC: E0511000 80010018
	v_mfma_f32_16x16x16_bf16 v[48:51], a[108:109], a[60:61], v[48:51]// 000000004FB4: D3E10030 1CC2796C
	s_add_u32 m0, 0x600, s46                                   // 000000004FBC: 807C2EFF 00000600
	buffer_load_dword v25, s[4:7], 0 offen lds                 // 000000004FC4: E0511000 80010019
	ds_read_b128 a[24:27], v31 offset:13952                    // 000000004FCC: DBFE3680 1800001F
	ds_read_b128 a[28:31], v31 offset:14016                    // 000000004FD4: DBFE36C0 1C00001F
	v_mfma_f32_16x16x16_bf16 v[48:51], a[110:111], a[62:63], v[48:51]// 000000004FDC: D3E10030 1CC27D6E
	s_add_u32 m0, 0x700, s46                                   // 000000004FE4: 807C2EFF 00000700
	buffer_load_dword v26, s[4:7], 0 offen lds                 // 000000004FEC: E0511000 8001001A
	v_mfma_f32_16x16x16_bf16 v[52:55], a[104:105], a[64:65], v[52:55]// 000000004FF4: D3E10034 1CD28168
	s_add_u32 m0, 0x800, s46                                   // 000000004FFC: 807C2EFF 00000800
	buffer_load_dword v27, s[4:7], 0 offen lds                 // 000000005004: E0511000 8001001B
	ds_read_b128 a[32:35], v31 offset:14464                    // 00000000500C: DBFE3880 2000001F
	ds_read_b128 a[36:39], v31 offset:14528                    // 000000005014: DBFE38C0 2400001F
	v_mfma_f32_16x16x16_bf16 v[52:55], a[106:107], a[66:67], v[52:55]// 00000000501C: D3E10034 1CD2856A
	s_add_u32 m0, 0x900, s46                                   // 000000005024: 807C2EFF 00000900
	buffer_load_dword v28, s[4:7], 0 offen lds                 // 00000000502C: E0511000 8001001C
	v_mfma_f32_16x16x16_bf16 v[52:55], a[108:109], a[68:69], v[52:55]// 000000005034: D3E10034 1CD2896C
	s_add_u32 m0, 0xa00, s46                                   // 00000000503C: 807C2EFF 00000A00
	buffer_load_dword v29, s[4:7], 0 offen lds                 // 000000005044: E0511000 8001001D
	ds_read_b128 a[40:43], v31 offset:14976                    // 00000000504C: DBFE3A80 2800001F
	ds_read_b128 a[44:47], v31 offset:15040                    // 000000005054: DBFE3AC0 2C00001F
	v_mfma_f32_16x16x16_bf16 v[52:55], a[110:111], a[70:71], v[52:55]// 00000000505C: D3E10034 1CD28D6E
	s_add_u32 m0, 0xb00, s46                                   // 000000005064: 807C2EFF 00000B00
	buffer_load_dword v30, s[4:7], 0 offen lds                 // 00000000506C: E0511000 8001001E
	v_mfma_f32_16x16x16_bf16 v[56:59], a[104:105], a[72:73], v[56:59]// 000000005074: D3E10038 1CE29168
	s_add_u32 s31, 0x100, s33                                  // 00000000507C: 801F21FF 00000100
	s_cmp_lt_u32 s31, s34                                      // 000000005084: BF0A221F
	s_cselect_b32 s44, s44, 0                                  // 000000005088: 852C802C
	s_add_u32 m0, 0, s49                                       // 00000000508C: 807C3180
	buffer_load_dword v32, s[8:11], 0 offen lds                // 000000005090: E0511000 80020020
	s_add_u32 s4, s44, s4                                      // 000000005098: 8004042C
	s_addc_u32 s5, 0, s5                                       // 00000000509C: 82050580
	ds_read_b128 a[96:99], v40 offset:45568                    // 0000000050A0: DBFEB200 60000028
	ds_read_b128 a[100:103], v40 offset:45632                  // 0000000050A8: DBFEB240 64000028
	v_mfma_f32_16x16x16_bf16 v[56:59], a[106:107], a[74:75], v[56:59]// 0000000050B0: D3E10038 1CE2956A
	s_add_u32 m0, 0x100, s49                                   // 0000000050B8: 807C31FF 00000100
	buffer_load_dword v33, s[8:11], 0 offen lds                // 0000000050C0: E0511000 80020021
	v_mfma_f32_16x16x16_bf16 v[56:59], a[108:109], a[76:77], v[56:59]// 0000000050C8: D3E10038 1CE2996C
	s_add_u32 m0, 0x200, s49                                   // 0000000050D0: 807C31FF 00000200
	buffer_load_dword v34, s[8:11], 0 offen lds                // 0000000050D8: E0511000 80020022
	v_mfma_f32_16x16x16_bf16 v[56:59], a[110:111], a[78:79], v[56:59]// 0000000050E0: D3E10038 1CE29D6E
	s_add_u32 m0, 0x300, s49                                   // 0000000050E8: 807C31FF 00000300
	buffer_load_dword v35, s[8:11], 0 offen lds                // 0000000050F0: E0511000 80020023
	v_mfma_f32_16x16x16_bf16 v[60:63], a[104:105], a[80:81], v[60:63]// 0000000050F8: D3E1003C 1CF2A168
	s_add_u32 m0, 0x400, s49                                   // 000000005100: 807C31FF 00000400
	buffer_load_dword v36, s[8:11], 0 offen lds                // 000000005108: E0511000 80020024
	v_mfma_f32_16x16x16_bf16 v[60:63], a[106:107], a[82:83], v[60:63]// 000000005110: D3E1003C 1CF2A56A
	s_add_u32 m0, 0x500, s49                                   // 000000005118: 807C31FF 00000500
	buffer_load_dword v37, s[8:11], 0 offen lds                // 000000005120: E0511000 80020025
	v_mfma_f32_16x16x16_bf16 v[60:63], a[108:109], a[84:85], v[60:63]// 000000005128: D3E1003C 1CF2A96C
	s_add_u32 m0, 0x600, s49                                   // 000000005130: 807C31FF 00000600
	buffer_load_dword v38, s[8:11], 0 offen lds                // 000000005138: E0511000 80020026
	v_mfma_f32_16x16x16_bf16 v[60:63], a[110:111], a[86:87], v[60:63]// 000000005140: D3E1003C 1CF2AD6E
	s_add_u32 m0, 0x700, s49                                   // 000000005148: 807C31FF 00000700
	buffer_load_dword v39, s[8:11], 0 offen lds                // 000000005150: E0511000 80020027
	v_mfma_f32_16x16x16_bf16 v[64:67], a[104:105], a[88:89], v[64:67]// 000000005158: D3E10040 1D02B168
	s_add_u32 s31, 0x100, s33                                  // 000000005160: 801F21FF 00000100
	s_cmp_lt_u32 s31, s34                                      // 000000005168: BF0A221F
	s_cselect_b32 s45, s45, 0                                  // 00000000516C: 852D802D
	s_add_u32 s8, s45, s8                                      // 000000005170: 8008082D
	s_addc_u32 s9, 0, s9                                       // 000000005174: 82090980
	v_mfma_f32_16x16x16_bf16 v[64:67], a[106:107], a[90:91], v[64:67]// 000000005178: D3E10040 1D02B56A
	v_mfma_f32_16x16x16_bf16 v[64:67], a[108:109], a[92:93], v[64:67]// 000000005180: D3E10040 1D02B96C
	v_mfma_f32_16x16x16_bf16 v[64:67], a[110:111], a[94:95], v[64:67]// 000000005188: D3E10040 1D02BD6E
	s_addk_i32 s33, 0x40                                       // 000000005190: B7210040
	s_cmp_lt_i32 s33, s34                                      // 000000005194: BF042221
	s_cbranch_scc0 label_0B3E                                  // 000000005198: BF840157
	s_waitcnt vmcnt(20) lgkmcnt(0)                             // 00000000519C: BF8C4074
	s_barrier                                                  // 0000000051A0: BF8A0000
	v_mfma_f32_16x16x16_bf16 v[44:47], a[96:97], a[0:1], v[44:47]// 0000000051A4: D3E1002C 1CB20160
	s_add_u32 m0, 0, s47                                       // 0000000051AC: 807C2F80
	buffer_load_dword v19, s[4:7], 0 offen lds                 // 0000000051B0: E0511000 80010013
	ds_read_b128 a[48:51], v31 offset:24832                    // 0000000051B8: DBFE6100 3000001F
	ds_read_b128 a[52:55], v31 offset:24896                    // 0000000051C0: DBFE6140 3400001F
	v_mfma_f32_16x16x16_bf16 v[44:47], a[98:99], a[2:3], v[44:47]// 0000000051C8: D3E1002C 1CB20562
	s_add_u32 m0, 0x100, s47                                   // 0000000051D0: 807C2FFF 00000100
	buffer_load_dword v20, s[4:7], 0 offen lds                 // 0000000051D8: E0511000 80010014
	v_mfma_f32_16x16x16_bf16 v[44:47], a[100:101], a[4:5], v[44:47]// 0000000051E0: D3E1002C 1CB20964
	s_add_u32 m0, 0x200, s47                                   // 0000000051E8: 807C2FFF 00000200
	buffer_load_dword v21, s[4:7], 0 offen lds                 // 0000000051F0: E0511000 80010015
	ds_read_b128 a[56:59], v31 offset:25344                    // 0000000051F8: DBFE6300 3800001F
	ds_read_b128 a[60:63], v31 offset:25408                    // 000000005200: DBFE6340 3C00001F
	v_mfma_f32_16x16x16_bf16 v[44:47], a[102:103], a[6:7], v[44:47]// 000000005208: D3E1002C 1CB20D66
	s_add_u32 m0, 0x300, s47                                   // 000000005210: 807C2FFF 00000300
	buffer_load_dword v22, s[4:7], 0 offen lds                 // 000000005218: E0511000 80010016
	v_mfma_f32_16x16x16_bf16 v[48:51], a[96:97], a[8:9], v[48:51]// 000000005220: D3E10030 1CC21160
	s_add_u32 m0, 0x400, s47                                   // 000000005228: 807C2FFF 00000400
	buffer_load_dword v23, s[4:7], 0 offen lds                 // 000000005230: E0511000 80010017
	ds_read_b128 a[64:67], v31 offset:25856                    // 000000005238: DBFE6500 4000001F
	ds_read_b128 a[68:71], v31 offset:25920                    // 000000005240: DBFE6540 4400001F
	v_mfma_f32_16x16x16_bf16 v[48:51], a[98:99], a[10:11], v[48:51]// 000000005248: D3E10030 1CC21562
	s_add_u32 m0, 0x500, s47                                   // 000000005250: 807C2FFF 00000500
	buffer_load_dword v24, s[4:7], 0 offen lds                 // 000000005258: E0511000 80010018
	v_mfma_f32_16x16x16_bf16 v[48:51], a[100:101], a[12:13], v[48:51]// 000000005260: D3E10030 1CC21964
	s_add_u32 m0, 0x600, s47                                   // 000000005268: 807C2FFF 00000600
	buffer_load_dword v25, s[4:7], 0 offen lds                 // 000000005270: E0511000 80010019
	ds_read_b128 a[72:75], v31 offset:26368                    // 000000005278: DBFE6700 4800001F
	ds_read_b128 a[76:79], v31 offset:26432                    // 000000005280: DBFE6740 4C00001F
	v_mfma_f32_16x16x16_bf16 v[48:51], a[102:103], a[14:15], v[48:51]// 000000005288: D3E10030 1CC21D66
	s_add_u32 m0, 0x700, s47                                   // 000000005290: 807C2FFF 00000700
	buffer_load_dword v26, s[4:7], 0 offen lds                 // 000000005298: E0511000 8001001A
	v_mfma_f32_16x16x16_bf16 v[52:55], a[96:97], a[16:17], v[52:55]// 0000000052A0: D3E10034 1CD22160
	s_add_u32 m0, 0x800, s47                                   // 0000000052A8: 807C2FFF 00000800
	buffer_load_dword v27, s[4:7], 0 offen lds                 // 0000000052B0: E0511000 8001001B
	ds_read_b128 a[80:83], v31 offset:26880                    // 0000000052B8: DBFE6900 5000001F
	ds_read_b128 a[84:87], v31 offset:26944                    // 0000000052C0: DBFE6940 5400001F
	v_mfma_f32_16x16x16_bf16 v[52:55], a[98:99], a[18:19], v[52:55]// 0000000052C8: D3E10034 1CD22562
	s_add_u32 m0, 0x900, s47                                   // 0000000052D0: 807C2FFF 00000900
	buffer_load_dword v28, s[4:7], 0 offen lds                 // 0000000052D8: E0511000 8001001C
	v_mfma_f32_16x16x16_bf16 v[52:55], a[100:101], a[20:21], v[52:55]// 0000000052E0: D3E10034 1CD22964
	s_add_u32 m0, 0xa00, s47                                   // 0000000052E8: 807C2FFF 00000A00
	buffer_load_dword v29, s[4:7], 0 offen lds                 // 0000000052F0: E0511000 8001001D
	ds_read_b128 a[88:91], v31 offset:27392                    // 0000000052F8: DBFE6B00 5800001F
	ds_read_b128 a[92:95], v31 offset:27456                    // 000000005300: DBFE6B40 5C00001F
	v_mfma_f32_16x16x16_bf16 v[52:55], a[102:103], a[22:23], v[52:55]// 000000005308: D3E10034 1CD22D66
	s_add_u32 m0, 0xb00, s47                                   // 000000005310: 807C2FFF 00000B00
	buffer_load_dword v30, s[4:7], 0 offen lds                 // 000000005318: E0511000 8001001E
	v_mfma_f32_16x16x16_bf16 v[56:59], a[96:97], a[24:25], v[56:59]// 000000005320: D3E10038 1CE23160
	s_add_u32 s31, 0x100, s33                                  // 000000005328: 801F21FF 00000100
	s_cmp_lt_u32 s31, s34                                      // 000000005330: BF0A221F
	s_cselect_b32 s44, s44, 0                                  // 000000005334: 852C802C
	s_add_u32 m0, 0, s50                                       // 000000005338: 807C3280
	buffer_load_dword v32, s[8:11], 0 offen lds                // 00000000533C: E0511000 80020020
	s_add_u32 s4, s44, s4                                      // 000000005344: 8004042C
	s_addc_u32 s5, 0, s5                                       // 000000005348: 82050580
	ds_read_b128 a[104:107], v40 offset:53888                  // 00000000534C: DBFED280 68000028
	ds_read_b128 a[108:111], v40 offset:53952                  // 000000005354: DBFED2C0 6C000028
	v_mfma_f32_16x16x16_bf16 v[56:59], a[98:99], a[26:27], v[56:59]// 00000000535C: D3E10038 1CE23562
	s_add_u32 m0, 0x100, s50                                   // 000000005364: 807C32FF 00000100
	buffer_load_dword v33, s[8:11], 0 offen lds                // 00000000536C: E0511000 80020021
	v_mfma_f32_16x16x16_bf16 v[56:59], a[100:101], a[28:29], v[56:59]// 000000005374: D3E10038 1CE23964
	s_add_u32 m0, 0x200, s50                                   // 00000000537C: 807C32FF 00000200
	buffer_load_dword v34, s[8:11], 0 offen lds                // 000000005384: E0511000 80020022
	v_mfma_f32_16x16x16_bf16 v[56:59], a[102:103], a[30:31], v[56:59]// 00000000538C: D3E10038 1CE23D66
	s_add_u32 m0, 0x300, s50                                   // 000000005394: 807C32FF 00000300
	buffer_load_dword v35, s[8:11], 0 offen lds                // 00000000539C: E0511000 80020023
	v_mfma_f32_16x16x16_bf16 v[60:63], a[96:97], a[32:33], v[60:63]// 0000000053A4: D3E1003C 1CF24160
	s_add_u32 m0, 0x400, s50                                   // 0000000053AC: 807C32FF 00000400
	buffer_load_dword v36, s[8:11], 0 offen lds                // 0000000053B4: E0511000 80020024
	v_mfma_f32_16x16x16_bf16 v[60:63], a[98:99], a[34:35], v[60:63]// 0000000053BC: D3E1003C 1CF24562
	s_add_u32 m0, 0x500, s50                                   // 0000000053C4: 807C32FF 00000500
	buffer_load_dword v37, s[8:11], 0 offen lds                // 0000000053CC: E0511000 80020025
	v_mfma_f32_16x16x16_bf16 v[60:63], a[100:101], a[36:37], v[60:63]// 0000000053D4: D3E1003C 1CF24964
	s_add_u32 m0, 0x600, s50                                   // 0000000053DC: 807C32FF 00000600
	buffer_load_dword v38, s[8:11], 0 offen lds                // 0000000053E4: E0511000 80020026
	v_mfma_f32_16x16x16_bf16 v[60:63], a[102:103], a[38:39], v[60:63]// 0000000053EC: D3E1003C 1CF24D66
	s_add_u32 m0, 0x700, s50                                   // 0000000053F4: 807C32FF 00000700
	buffer_load_dword v39, s[8:11], 0 offen lds                // 0000000053FC: E0511000 80020027
	v_mfma_f32_16x16x16_bf16 v[64:67], a[96:97], a[40:41], v[64:67]// 000000005404: D3E10040 1D025160
	s_add_u32 s31, 0x100, s33                                  // 00000000540C: 801F21FF 00000100
	s_cmp_lt_u32 s31, s34                                      // 000000005414: BF0A221F
	s_cselect_b32 s45, s45, 0                                  // 000000005418: 852D802D
	s_add_u32 s8, s45, s8                                      // 00000000541C: 8008082D
	s_addc_u32 s9, 0, s9                                       // 000000005420: 82090980
	v_mfma_f32_16x16x16_bf16 v[64:67], a[98:99], a[42:43], v[64:67]// 000000005424: D3E10040 1D025562
	v_mfma_f32_16x16x16_bf16 v[64:67], a[100:101], a[44:45], v[64:67]// 00000000542C: D3E10040 1D025964
	v_mfma_f32_16x16x16_bf16 v[64:67], a[102:103], a[46:47], v[64:67]// 000000005434: D3E10040 1D025D66
	s_addk_i32 s33, 0x40                                       // 00000000543C: B7210040
	s_cmp_lt_i32 s33, s34                                      // 000000005440: BF042221
	s_cbranch_scc0 label_0B3E                                  // 000000005444: BF8400AC
	s_waitcnt vmcnt(20) lgkmcnt(0)                             // 000000005448: BF8C4074
	s_barrier                                                  // 00000000544C: BF8A0000
	v_mfma_f32_16x16x16_bf16 v[44:47], a[104:105], a[48:49], v[44:47]// 000000005450: D3E1002C 1CB26168
	s_add_u32 m0, 0, s48                                       // 000000005458: 807C3080
	buffer_load_dword v19, s[4:7], 0 offen lds                 // 00000000545C: E0511000 80010013
	ds_read_b128 a[0:3], v31                                   // 000000005464: DBFE0000 0000001F
	ds_read_b128 a[4:7], v31 offset:64                         // 00000000546C: DBFE0040 0400001F
	v_mfma_f32_16x16x16_bf16 v[44:47], a[106:107], a[50:51], v[44:47]// 000000005474: D3E1002C 1CB2656A
	s_add_u32 m0, 0x100, s48                                   // 00000000547C: 807C30FF 00000100
	buffer_load_dword v20, s[4:7], 0 offen lds                 // 000000005484: E0511000 80010014
	v_mfma_f32_16x16x16_bf16 v[44:47], a[108:109], a[52:53], v[44:47]// 00000000548C: D3E1002C 1CB2696C
	s_add_u32 m0, 0x200, s48                                   // 000000005494: 807C30FF 00000200
	buffer_load_dword v21, s[4:7], 0 offen lds                 // 00000000549C: E0511000 80010015
	ds_read_b128 a[8:11], v31 offset:512                       // 0000000054A4: DBFE0200 0800001F
	ds_read_b128 a[12:15], v31 offset:576                      // 0000000054AC: DBFE0240 0C00001F
	v_mfma_f32_16x16x16_bf16 v[44:47], a[110:111], a[54:55], v[44:47]// 0000000054B4: D3E1002C 1CB26D6E
	s_add_u32 m0, 0x300, s48                                   // 0000000054BC: 807C30FF 00000300
	buffer_load_dword v22, s[4:7], 0 offen lds                 // 0000000054C4: E0511000 80010016
	v_mfma_f32_16x16x16_bf16 v[48:51], a[104:105], a[56:57], v[48:51]// 0000000054CC: D3E10030 1CC27168
	s_add_u32 m0, 0x400, s48                                   // 0000000054D4: 807C30FF 00000400
	buffer_load_dword v23, s[4:7], 0 offen lds                 // 0000000054DC: E0511000 80010017
	ds_read_b128 a[16:19], v31 offset:1024                     // 0000000054E4: DBFE0400 1000001F
	ds_read_b128 a[20:23], v31 offset:1088                     // 0000000054EC: DBFE0440 1400001F
	v_mfma_f32_16x16x16_bf16 v[48:51], a[106:107], a[58:59], v[48:51]// 0000000054F4: D3E10030 1CC2756A
	s_add_u32 m0, 0x500, s48                                   // 0000000054FC: 807C30FF 00000500
	buffer_load_dword v24, s[4:7], 0 offen lds                 // 000000005504: E0511000 80010018
	v_mfma_f32_16x16x16_bf16 v[48:51], a[108:109], a[60:61], v[48:51]// 00000000550C: D3E10030 1CC2796C
	s_add_u32 m0, 0x600, s48                                   // 000000005514: 807C30FF 00000600
	buffer_load_dword v25, s[4:7], 0 offen lds                 // 00000000551C: E0511000 80010019
	ds_read_b128 a[24:27], v31 offset:1536                     // 000000005524: DBFE0600 1800001F
	ds_read_b128 a[28:31], v31 offset:1600                     // 00000000552C: DBFE0640 1C00001F
	v_mfma_f32_16x16x16_bf16 v[48:51], a[110:111], a[62:63], v[48:51]// 000000005534: D3E10030 1CC27D6E
	s_add_u32 m0, 0x700, s48                                   // 00000000553C: 807C30FF 00000700
	buffer_load_dword v26, s[4:7], 0 offen lds                 // 000000005544: E0511000 8001001A
	v_mfma_f32_16x16x16_bf16 v[52:55], a[104:105], a[64:65], v[52:55]// 00000000554C: D3E10034 1CD28168
	s_add_u32 m0, 0x800, s48                                   // 000000005554: 807C30FF 00000800
	buffer_load_dword v27, s[4:7], 0 offen lds                 // 00000000555C: E0511000 8001001B
	ds_read_b128 a[32:35], v31 offset:2048                     // 000000005564: DBFE0800 2000001F
	ds_read_b128 a[36:39], v31 offset:2112                     // 00000000556C: DBFE0840 2400001F
	v_mfma_f32_16x16x16_bf16 v[52:55], a[106:107], a[66:67], v[52:55]// 000000005574: D3E10034 1CD2856A
	s_add_u32 m0, 0x900, s48                                   // 00000000557C: 807C30FF 00000900
	buffer_load_dword v28, s[4:7], 0 offen lds                 // 000000005584: E0511000 8001001C
	v_mfma_f32_16x16x16_bf16 v[52:55], a[108:109], a[68:69], v[52:55]// 00000000558C: D3E10034 1CD2896C
	s_add_u32 m0, 0xa00, s48                                   // 000000005594: 807C30FF 00000A00
	buffer_load_dword v29, s[4:7], 0 offen lds                 // 00000000559C: E0511000 8001001D
	ds_read_b128 a[40:43], v31 offset:2560                     // 0000000055A4: DBFE0A00 2800001F
	ds_read_b128 a[44:47], v31 offset:2624                     // 0000000055AC: DBFE0A40 2C00001F
	v_mfma_f32_16x16x16_bf16 v[52:55], a[110:111], a[70:71], v[52:55]// 0000000055B4: D3E10034 1CD28D6E
	s_add_u32 m0, 0xb00, s48                                   // 0000000055BC: 807C30FF 00000B00
	buffer_load_dword v30, s[4:7], 0 offen lds                 // 0000000055C4: E0511000 8001001E
	v_mfma_f32_16x16x16_bf16 v[56:59], a[104:105], a[72:73], v[56:59]// 0000000055CC: D3E10038 1CE29168
	s_add_u32 s31, 0x100, s33                                  // 0000000055D4: 801F21FF 00000100
	s_cmp_lt_u32 s31, s34                                      // 0000000055DC: BF0A221F
	s_cselect_b32 s44, s44, 0                                  // 0000000055E0: 852C802C
	s_add_u32 m0, 0, s51                                       // 0000000055E4: 807C3380
	buffer_load_dword v32, s[8:11], 0 offen lds                // 0000000055E8: E0511000 80020020
	s_add_u32 s4, s44, s4                                      // 0000000055F0: 8004042C
	s_addc_u32 s5, 0, s5                                       // 0000000055F4: 82050580
	ds_read_b128 a[96:99], v40 offset:37248                    // 0000000055F8: DBFE9180 60000028
	ds_read_b128 a[100:103], v40 offset:37312                  // 000000005600: DBFE91C0 64000028
	v_mfma_f32_16x16x16_bf16 v[56:59], a[106:107], a[74:75], v[56:59]// 000000005608: D3E10038 1CE2956A
	s_add_u32 m0, 0x100, s51                                   // 000000005610: 807C33FF 00000100
	buffer_load_dword v33, s[8:11], 0 offen lds                // 000000005618: E0511000 80020021
	v_mfma_f32_16x16x16_bf16 v[56:59], a[108:109], a[76:77], v[56:59]// 000000005620: D3E10038 1CE2996C
	s_add_u32 m0, 0x200, s51                                   // 000000005628: 807C33FF 00000200
	buffer_load_dword v34, s[8:11], 0 offen lds                // 000000005630: E0511000 80020022
	v_mfma_f32_16x16x16_bf16 v[56:59], a[110:111], a[78:79], v[56:59]// 000000005638: D3E10038 1CE29D6E
	s_add_u32 m0, 0x300, s51                                   // 000000005640: 807C33FF 00000300
	buffer_load_dword v35, s[8:11], 0 offen lds                // 000000005648: E0511000 80020023
	v_mfma_f32_16x16x16_bf16 v[60:63], a[104:105], a[80:81], v[60:63]// 000000005650: D3E1003C 1CF2A168
	s_add_u32 m0, 0x400, s51                                   // 000000005658: 807C33FF 00000400
	buffer_load_dword v36, s[8:11], 0 offen lds                // 000000005660: E0511000 80020024
	v_mfma_f32_16x16x16_bf16 v[60:63], a[106:107], a[82:83], v[60:63]// 000000005668: D3E1003C 1CF2A56A
	s_add_u32 m0, 0x500, s51                                   // 000000005670: 807C33FF 00000500
	buffer_load_dword v37, s[8:11], 0 offen lds                // 000000005678: E0511000 80020025
	v_mfma_f32_16x16x16_bf16 v[60:63], a[108:109], a[84:85], v[60:63]// 000000005680: D3E1003C 1CF2A96C
	s_add_u32 m0, 0x600, s51                                   // 000000005688: 807C33FF 00000600
	buffer_load_dword v38, s[8:11], 0 offen lds                // 000000005690: E0511000 80020026
	v_mfma_f32_16x16x16_bf16 v[60:63], a[110:111], a[86:87], v[60:63]// 000000005698: D3E1003C 1CF2AD6E
	s_add_u32 m0, 0x700, s51                                   // 0000000056A0: 807C33FF 00000700
	buffer_load_dword v39, s[8:11], 0 offen lds                // 0000000056A8: E0511000 80020027
	v_mfma_f32_16x16x16_bf16 v[64:67], a[104:105], a[88:89], v[64:67]// 0000000056B0: D3E10040 1D02B168
	s_add_u32 s31, 0x100, s33                                  // 0000000056B8: 801F21FF 00000100
	s_cmp_lt_u32 s31, s34                                      // 0000000056C0: BF0A221F
	s_cselect_b32 s45, s45, 0                                  // 0000000056C4: 852D802D
	s_add_u32 s8, s45, s8                                      // 0000000056C8: 8008082D
	s_addc_u32 s9, 0, s9                                       // 0000000056CC: 82090980
	v_mfma_f32_16x16x16_bf16 v[64:67], a[106:107], a[90:91], v[64:67]// 0000000056D0: D3E10040 1D02B56A
	v_mfma_f32_16x16x16_bf16 v[64:67], a[108:109], a[92:93], v[64:67]// 0000000056D8: D3E10040 1D02B96C
	v_mfma_f32_16x16x16_bf16 v[64:67], a[110:111], a[94:95], v[64:67]// 0000000056E0: D3E10040 1D02BD6E
	s_addk_i32 s33, 0x40                                       // 0000000056E8: B7210040
	s_cmp_lt_i32 s33, s34                                      // 0000000056EC: BF042221
	s_cbranch_scc0 label_0B3E                                  // 0000000056F0: BF840001
	s_branch label_073B                                        // 0000000056F4: BF82FBFD

00000000000056f8 <label_0B3E>:
	s_cmp_le_u32 s52, 1                                        // 0000000056F8: BF0B8134
	s_cbranch_scc1 label_1046                                  // 0000000056FC: BF850506
	s_mov_b32 s31, 0x60                                        // 000000005700: BE9F00FF 00000060
	s_cmp_lt_u32 s55, s31                                      // 000000005708: BF0A1F37
	s_cbranch_scc1 label_0D35                                  // 00000000570C: BF8501F1
	v_mov_b32_e32 v5, 0                                        // 000000005710: 7E0A0280
	s_and_b32 s17, s17, 0xffff                                 // 000000005714: 8611FF11 0000FFFF
	s_cmp_lt_u32 s54, 1                                        // 00000000571C: BF0A8136
	s_cbranch_scc0 label_0C0E                                  // 000000005720: BF8400C5
	v_lshrrev_b32_e32 v4, 4, v0                                // 000000005724: 20080084
	v_mul_u32_u24_e32 v31, 0x44, v4                            // 000000005728: 103E08FF 00000044
	v_and_b32_e32 v4, 15, v0                                   // 000000005730: 2608008F
	v_mul_lo_u32 v5, 4, v4                                     // 000000005734: D2850005 00020884
	v_add_u32_e32 v31, v5, v31                                 // 00000000573C: 683E3F05
	s_mul_i32 s31, s24, 0x110                                  // 000000005740: 921FFF18 00000110
	v_add_u32_e32 v31, s31, v31                                // 000000005748: 683E3E1F
	v_lshlrev_b32_e32 v31, 2, v31                              // 00000000574C: 243E3E82
	v_lshrrev_b32_e32 v4, 2, v0                                // 000000005750: 20080082
	v_mul_u32_u24_e32 v40, 0x44, v4                            // 000000005754: 105008FF 00000044
	v_and_b32_e32 v4, 3, v0                                    // 00000000575C: 26080083
	v_add_u32_e32 v40, v4, v40                                 // 000000005760: 68505104
	s_mul_i32 s31, s24, 4                                      // 000000005764: 921F8418
	v_add_u32_e32 v40, s31, v40                                // 000000005768: 6850501F
	v_lshlrev_b32_e32 v40, 2, v40                              // 00000000576C: 24505082
	s_waitcnt vmcnt(0) expcnt(0) lgkmcnt(0)                    // 000000005770: BF8C0000
	s_barrier                                                  // 000000005774: BF8A0000
	ds_write_b128 v31, v[44:47]                                // 000000005778: D9BE0000 00002C1F
	ds_write_b128 v31, v[48:51] offset:4352                    // 000000005780: D9BE1100 0000301F
	ds_write_b128 v31, v[52:55] offset:8704                    // 000000005788: D9BE2200 0000341F
	ds_write_b128 v31, v[56:59] offset:13056                   // 000000005790: D9BE3300 0000381F
	ds_write_b128 v31, v[60:63] offset:17408                   // 000000005798: D9BE4400 00003C1F
	ds_write_b128 v31, v[64:67] offset:21760                   // 0000000057A0: D9BE5500 0000401F
	s_waitcnt lgkmcnt(0)                                       // 0000000057A8: BF8CC07F
	s_barrier                                                  // 0000000057AC: BF8A0000
	ds_read_b32 v44, v40                                       // 0000000057B0: D86C0000 2C000028
	ds_read_b32 v45, v40 offset:64                             // 0000000057B8: D86C0040 2D000028
	ds_read_b32 v46, v40 offset:128                            // 0000000057C0: D86C0080 2E000028
	ds_read_b32 v47, v40 offset:192                            // 0000000057C8: D86C00C0 2F000028
	ds_read_b32 v48, v40 offset:4352                           // 0000000057D0: D86C1100 30000028
	ds_read_b32 v49, v40 offset:4416                           // 0000000057D8: D86C1140 31000028
	ds_read_b32 v50, v40 offset:4480                           // 0000000057E0: D86C1180 32000028
	ds_read_b32 v51, v40 offset:4544                           // 0000000057E8: D86C11C0 33000028
	ds_read_b32 v52, v40 offset:8704                           // 0000000057F0: D86C2200 34000028
	ds_read_b32 v53, v40 offset:8768                           // 0000000057F8: D86C2240 35000028
	ds_read_b32 v54, v40 offset:8832                           // 000000005800: D86C2280 36000028
	ds_read_b32 v55, v40 offset:8896                           // 000000005808: D86C22C0 37000028
	ds_read_b32 v56, v40 offset:13056                          // 000000005810: D86C3300 38000028
	ds_read_b32 v57, v40 offset:13120                          // 000000005818: D86C3340 39000028
	ds_read_b32 v58, v40 offset:13184                          // 000000005820: D86C3380 3A000028
	ds_read_b32 v59, v40 offset:13248                          // 000000005828: D86C33C0 3B000028
	ds_read_b32 v60, v40 offset:17408                          // 000000005830: D86C4400 3C000028
	ds_read_b32 v61, v40 offset:17472                          // 000000005838: D86C4440 3D000028
	ds_read_b32 v62, v40 offset:17536                          // 000000005840: D86C4480 3E000028
	ds_read_b32 v63, v40 offset:17600                          // 000000005848: D86C44C0 3F000028
	ds_read_b32 v64, v40 offset:21760                          // 000000005850: D86C5500 40000028
	ds_read_b32 v65, v40 offset:21824                          // 000000005858: D86C5540 41000028
	ds_read_b32 v66, v40 offset:21888                          // 000000005860: D86C5580 42000028
	ds_read_b32 v67, v40 offset:21952                          // 000000005868: D86C55C0 43000028
	s_waitcnt lgkmcnt(0)                                       // 000000005870: BF8CC07F
	s_cmp_eq_u32 s24, 0                                        // 000000005874: BF068018
	s_cbranch_scc0 label_0BA5                                  // 000000005878: BF840006
	s_mov_b32 s31, 0                                           // 00000000587C: BE9F0080

0000000000005880 <label_0BA0>:
	s_load_dword s32, s[40:41], s62 glc                        // 000000005880: C0010814 0000003E
	s_waitcnt lgkmcnt(0)                                       // 000000005888: BF8CC07F
	s_cmp_gt_u32 s32, s31                                      // 00000000588C: BF081F20
	s_cbranch_scc0 label_0BA0                                  // 000000005890: BF84FFFB

0000000000005894 <label_0BA5>:
	s_barrier                                                  // 000000005894: BF8A0000
	s_mul_i32 s31, s30, 4                                      // 000000005898: 921F841E
	v_mov_b32_e32 v4, v18                                      // 00000000589C: 7E080312
	global_atomic_add_f32 v4, v44, s[16:17]                    // 0000000058A0: DD348000 00102C04
	v_add_u32_e64 v4, v4, s31                                  // 0000000058A8: D1340004 00003F04
	global_atomic_add_f32 v4, v45, s[16:17]                    // 0000000058B0: DD348000 00102D04
	v_add_u32_e64 v4, v4, s31                                  // 0000000058B8: D1340004 00003F04
	global_atomic_add_f32 v4, v46, s[16:17]                    // 0000000058C0: DD348000 00102E04
	v_add_u32_e64 v4, v4, s31                                  // 0000000058C8: D1340004 00003F04
	global_atomic_add_f32 v4, v47, s[16:17]                    // 0000000058D0: DD348000 00102F04
	v_add_u32_e64 v4, v4, s31                                  // 0000000058D8: D1340004 00003F04
	global_atomic_add_f32 v4, v48, s[16:17]                    // 0000000058E0: DD348000 00103004
	v_add_u32_e64 v4, v4, s31                                  // 0000000058E8: D1340004 00003F04
	global_atomic_add_f32 v4, v49, s[16:17]                    // 0000000058F0: DD348000 00103104
	v_add_u32_e64 v4, v4, s31                                  // 0000000058F8: D1340004 00003F04
	global_atomic_add_f32 v4, v50, s[16:17]                    // 000000005900: DD348000 00103204
	v_add_u32_e64 v4, v4, s31                                  // 000000005908: D1340004 00003F04
	global_atomic_add_f32 v4, v51, s[16:17]                    // 000000005910: DD348000 00103304
	v_add_u32_e64 v4, v4, s31                                  // 000000005918: D1340004 00003F04
	;; [unrolled: 2-line block ×8, first 2 shown]
	global_atomic_add_f32 v4, v58, s[16:17]                    // 000000005980: DD348000 00103A04
	v_add_u32_e64 v4, v4, s31                                  // 000000005988: D1340004 00003F04
	global_atomic_add_f32 v4, v59, s[16:17]                    // 000000005990: DD348000 00103B04
	v_add_u32_e64 v4, v4, s31                                  // 000000005998: D1340004 00003F04
	global_atomic_add_f32 v4, v60, s[16:17]                    // 0000000059A0: DD348000 00103C04
	v_add_u32_e64 v4, v4, s31                                  // 0000000059A8: D1340004 00003F04
	global_atomic_add_f32 v4, v61, s[16:17]                    // 0000000059B0: DD348000 00103D04
	v_add_u32_e64 v4, v4, s31                                  // 0000000059B8: D1340004 00003F04
	global_atomic_add_f32 v4, v62, s[16:17]                    // 0000000059C0: DD348000 00103E04
	v_add_u32_e64 v4, v4, s31                                  // 0000000059C8: D1340004 00003F04
	global_atomic_add_f32 v4, v63, s[16:17]                    // 0000000059D0: DD348000 00103F04
	v_add_u32_e64 v4, v4, s31                                  // 0000000059D8: D1340004 00003F04
	global_atomic_add_f32 v4, v64, s[16:17]                    // 0000000059E0: DD348000 00104004
	v_add_u32_e64 v4, v4, s31                                  // 0000000059E8: D1340004 00003F04
	global_atomic_add_f32 v4, v65, s[16:17]                    // 0000000059F0: DD348000 00104104
	v_add_u32_e64 v4, v4, s31                                  // 0000000059F8: D1340004 00003F04
	global_atomic_add_f32 v4, v66, s[16:17]                    // 000000005A00: DD348000 00104204
	v_add_u32_e64 v4, v4, s31                                  // 000000005A08: D1340004 00003F04
	global_atomic_add_f32 v4, v67, s[16:17]                    // 000000005A10: DD348000 00104304
	v_add_u32_e64 v4, v4, s31                                  // 000000005A18: D1340004 00003F04
	s_barrier                                                  // 000000005A20: BF8A0000
	s_cmp_eq_u32 s24, 0                                        // 000000005A24: BF068018
	s_cbranch_scc0 label_1109                                  // 000000005A28: BF8404FE
	s_atomic_dec s52, s[40:41], s62                            // 000000005A2C: C2300D14 0000003E
	s_branch label_1109                                        // 000000005A34: BF8204FB

0000000000005a38 <label_0C0E>:
	v_lshrrev_b32_e32 v4, 4, v0                                // 000000005A38: 20080084
	v_mul_u32_u24_e32 v31, 34, v4                              // 000000005A3C: 103E08A2
	v_and_b32_e32 v4, 15, v0                                   // 000000005A40: 2608008F
	v_mul_lo_u32 v5, 2, v4                                     // 000000005A44: D2850005 00020882
	v_add_u32_e32 v31, v5, v31                                 // 000000005A4C: 683E3F05
	s_mul_i32 s31, s24, 0x88                                   // 000000005A50: 921FFF18 00000088
	v_add_u32_e32 v31, s31, v31                                // 000000005A58: 683E3E1F
	v_lshlrev_b32_e32 v31, 2, v31                              // 000000005A5C: 243E3E82
	v_and_b32_e32 v4, 31, v0                                   // 000000005A60: 2608009F
	v_lshrrev_b32_e32 v5, 1, v4                                // 000000005A64: 200A0881
	v_mul_u32_u24_e32 v40, 34, v5                              // 000000005A68: 10500AA2
	v_and_b32_e32 v5, 1, v4                                    // 000000005A6C: 260A0881
	v_add_u32_e32 v40, v5, v40                                 // 000000005A70: 68505105
	v_lshrrev_b32_e32 v4, 5, v0                                // 000000005A74: 20080085
	v_mul_u32_u24_e32 v4, 8, v4                                // 000000005A78: 10080888
	v_add_u32_e32 v40, v4, v40                                 // 000000005A7C: 68505104
	s_mul_i32 s31, s24, 2                                      // 000000005A80: 921F8218
	v_add_u32_e32 v40, s31, v40                                // 000000005A84: 6850501F
	v_lshlrev_b32_e32 v40, 2, v40                              // 000000005A88: 24505082
	s_waitcnt vmcnt(0) expcnt(0) lgkmcnt(0)                    // 000000005A8C: BF8C0000
	s_barrier                                                  // 000000005A90: BF8A0000
	v_cmp_u_f32_e64 s[60:61], v44, v44                         // 000000005A94: D048003C 0002592C
	v_add3_u32 v8, v44, v11, 1                                 // 000000005A9C: D1FF0008 0206172C
	v_cndmask_b32_e64 v4, v8, v10, s[60:61]                    // 000000005AA4: D1000004 00F21508
	v_cmp_u_f32_e64 s[60:61], v45, v45                         // 000000005AAC: D048003C 00025B2D
	v_add3_u32 v8, v45, v11, 1                                 // 000000005AB4: D1FF0008 0206172D
	v_cndmask_b32_e64 v5, v8, v10, s[60:61]                    // 000000005ABC: D1000005 00F21508
	v_perm_b32 v68, v5, v4, s35                                // 000000005AC4: D1ED0044 008E0905
	v_cmp_u_f32_e64 s[60:61], v46, v46                         // 000000005ACC: D048003C 00025D2E
	v_add3_u32 v8, v46, v11, 1                                 // 000000005AD4: D1FF0008 0206172E
	v_cndmask_b32_e64 v4, v8, v10, s[60:61]                    // 000000005ADC: D1000004 00F21508
	v_cmp_u_f32_e64 s[60:61], v47, v47                         // 000000005AE4: D048003C 00025F2F
	v_add3_u32 v8, v47, v11, 1                                 // 000000005AEC: D1FF0008 0206172F
	v_cndmask_b32_e64 v5, v8, v10, s[60:61]                    // 000000005AF4: D1000005 00F21508
	v_perm_b32 v69, v5, v4, s35                                // 000000005AFC: D1ED0045 008E0905
	v_cmp_u_f32_e64 s[60:61], v48, v48                         // 000000005B04: D048003C 00026130
	v_add3_u32 v8, v48, v11, 1                                 // 000000005B0C: D1FF0008 02061730
	v_cndmask_b32_e64 v4, v8, v10, s[60:61]                    // 000000005B14: D1000004 00F21508
	v_cmp_u_f32_e64 s[60:61], v49, v49                         // 000000005B1C: D048003C 00026331
	v_add3_u32 v8, v49, v11, 1                                 // 000000005B24: D1FF0008 02061731
	v_cndmask_b32_e64 v5, v8, v10, s[60:61]                    // 000000005B2C: D1000005 00F21508
	v_perm_b32 v70, v5, v4, s35                                // 000000005B34: D1ED0046 008E0905
	v_cmp_u_f32_e64 s[60:61], v50, v50                         // 000000005B3C: D048003C 00026532
	v_add3_u32 v8, v50, v11, 1                                 // 000000005B44: D1FF0008 02061732
	v_cndmask_b32_e64 v4, v8, v10, s[60:61]                    // 000000005B4C: D1000004 00F21508
	v_cmp_u_f32_e64 s[60:61], v51, v51                         // 000000005B54: D048003C 00026733
	v_add3_u32 v8, v51, v11, 1                                 // 000000005B5C: D1FF0008 02061733
	v_cndmask_b32_e64 v5, v8, v10, s[60:61]                    // 000000005B64: D1000005 00F21508
	v_perm_b32 v71, v5, v4, s35                                // 000000005B6C: D1ED0047 008E0905
	v_cmp_u_f32_e64 s[60:61], v52, v52                         // 000000005B74: D048003C 00026934
	v_add3_u32 v8, v52, v11, 1                                 // 000000005B7C: D1FF0008 02061734
	v_cndmask_b32_e64 v4, v8, v10, s[60:61]                    // 000000005B84: D1000004 00F21508
	v_cmp_u_f32_e64 s[60:61], v53, v53                         // 000000005B8C: D048003C 00026B35
	v_add3_u32 v8, v53, v11, 1                                 // 000000005B94: D1FF0008 02061735
	v_cndmask_b32_e64 v5, v8, v10, s[60:61]                    // 000000005B9C: D1000005 00F21508
	v_perm_b32 v72, v5, v4, s35                                // 000000005BA4: D1ED0048 008E0905
	v_cmp_u_f32_e64 s[60:61], v54, v54                         // 000000005BAC: D048003C 00026D36
	v_add3_u32 v8, v54, v11, 1                                 // 000000005BB4: D1FF0008 02061736
	v_cndmask_b32_e64 v4, v8, v10, s[60:61]                    // 000000005BBC: D1000004 00F21508
	v_cmp_u_f32_e64 s[60:61], v55, v55                         // 000000005BC4: D048003C 00026F37
	v_add3_u32 v8, v55, v11, 1                                 // 000000005BCC: D1FF0008 02061737
	v_cndmask_b32_e64 v5, v8, v10, s[60:61]                    // 000000005BD4: D1000005 00F21508
	v_perm_b32 v73, v5, v4, s35                                // 000000005BDC: D1ED0049 008E0905
	v_cmp_u_f32_e64 s[60:61], v56, v56                         // 000000005BE4: D048003C 00027138
	v_add3_u32 v8, v56, v11, 1                                 // 000000005BEC: D1FF0008 02061738
	v_cndmask_b32_e64 v4, v8, v10, s[60:61]                    // 000000005BF4: D1000004 00F21508
	v_cmp_u_f32_e64 s[60:61], v57, v57                         // 000000005BFC: D048003C 00027339
	v_add3_u32 v8, v57, v11, 1                                 // 000000005C04: D1FF0008 02061739
	v_cndmask_b32_e64 v5, v8, v10, s[60:61]                    // 000000005C0C: D1000005 00F21508
	v_perm_b32 v74, v5, v4, s35                                // 000000005C14: D1ED004A 008E0905
	v_cmp_u_f32_e64 s[60:61], v58, v58                         // 000000005C1C: D048003C 0002753A
	v_add3_u32 v8, v58, v11, 1                                 // 000000005C24: D1FF0008 0206173A
	v_cndmask_b32_e64 v4, v8, v10, s[60:61]                    // 000000005C2C: D1000004 00F21508
	v_cmp_u_f32_e64 s[60:61], v59, v59                         // 000000005C34: D048003C 0002773B
	v_add3_u32 v8, v59, v11, 1                                 // 000000005C3C: D1FF0008 0206173B
	v_cndmask_b32_e64 v5, v8, v10, s[60:61]                    // 000000005C44: D1000005 00F21508
	v_perm_b32 v75, v5, v4, s35                                // 000000005C4C: D1ED004B 008E0905
	v_cmp_u_f32_e64 s[60:61], v60, v60                         // 000000005C54: D048003C 0002793C
	v_add3_u32 v8, v60, v11, 1                                 // 000000005C5C: D1FF0008 0206173C
	v_cndmask_b32_e64 v4, v8, v10, s[60:61]                    // 000000005C64: D1000004 00F21508
	v_cmp_u_f32_e64 s[60:61], v61, v61                         // 000000005C6C: D048003C 00027B3D
	v_add3_u32 v8, v61, v11, 1                                 // 000000005C74: D1FF0008 0206173D
	v_cndmask_b32_e64 v5, v8, v10, s[60:61]                    // 000000005C7C: D1000005 00F21508
	v_perm_b32 v76, v5, v4, s35                                // 000000005C84: D1ED004C 008E0905
	v_cmp_u_f32_e64 s[60:61], v62, v62                         // 000000005C8C: D048003C 00027D3E
	v_add3_u32 v8, v62, v11, 1                                 // 000000005C94: D1FF0008 0206173E
	v_cndmask_b32_e64 v4, v8, v10, s[60:61]                    // 000000005C9C: D1000004 00F21508
	v_cmp_u_f32_e64 s[60:61], v63, v63                         // 000000005CA4: D048003C 00027F3F
	v_add3_u32 v8, v63, v11, 1                                 // 000000005CAC: D1FF0008 0206173F
	v_cndmask_b32_e64 v5, v8, v10, s[60:61]                    // 000000005CB4: D1000005 00F21508
	v_perm_b32 v77, v5, v4, s35                                // 000000005CBC: D1ED004D 008E0905
	v_cmp_u_f32_e64 s[60:61], v64, v64                         // 000000005CC4: D048003C 00028140
	v_add3_u32 v8, v64, v11, 1                                 // 000000005CCC: D1FF0008 02061740
	v_cndmask_b32_e64 v4, v8, v10, s[60:61]                    // 000000005CD4: D1000004 00F21508
	v_cmp_u_f32_e64 s[60:61], v65, v65                         // 000000005CDC: D048003C 00028341
	v_add3_u32 v8, v65, v11, 1                                 // 000000005CE4: D1FF0008 02061741
	v_cndmask_b32_e64 v5, v8, v10, s[60:61]                    // 000000005CEC: D1000005 00F21508
	v_perm_b32 v78, v5, v4, s35                                // 000000005CF4: D1ED004E 008E0905
	v_cmp_u_f32_e64 s[60:61], v66, v66                         // 000000005CFC: D048003C 00028542
	v_add3_u32 v8, v66, v11, 1                                 // 000000005D04: D1FF0008 02061742
	v_cndmask_b32_e64 v4, v8, v10, s[60:61]                    // 000000005D0C: D1000004 00F21508
	v_cmp_u_f32_e64 s[60:61], v67, v67                         // 000000005D14: D048003C 00028743
	v_add3_u32 v8, v67, v11, 1                                 // 000000005D1C: D1FF0008 02061743
	v_cndmask_b32_e64 v5, v8, v10, s[60:61]                    // 000000005D24: D1000005 00F21508
	v_perm_b32 v79, v5, v4, s35                                // 000000005D2C: D1ED004F 008E0905
	ds_write_b64 v31, v[68:69]                                 // 000000005D34: D89A0000 0000441F
	ds_write_b64 v31, v[70:71] offset:2176                     // 000000005D3C: D89A0880 0000461F
	ds_write_b64 v31, v[72:73] offset:4352                     // 000000005D44: D89A1100 0000481F
	ds_write_b64 v31, v[74:75] offset:6528                     // 000000005D4C: D89A1980 00004A1F
	ds_write_b64 v31, v[76:77] offset:8704                     // 000000005D54: D89A2200 00004C1F
	ds_write_b64 v31, v[78:79] offset:10880                    // 000000005D5C: D89A2A80 00004E1F
	s_waitcnt lgkmcnt(0)                                       // 000000005D64: BF8CC07F
	s_barrier                                                  // 000000005D68: BF8A0000
	ds_read_b32 v68, v40                                       // 000000005D6C: D86C0000 44000028
	ds_read_b32 v69, v40 offset:64                             // 000000005D74: D86C0040 45000028
	ds_read_b32 v70, v40 offset:2176                           // 000000005D7C: D86C0880 46000028
	ds_read_b32 v71, v40 offset:2240                           // 000000005D84: D86C08C0 47000028
	ds_read_b32 v72, v40 offset:4352                           // 000000005D8C: D86C1100 48000028
	ds_read_b32 v73, v40 offset:4416                           // 000000005D94: D86C1140 49000028
	ds_read_b32 v74, v40 offset:6528                           // 000000005D9C: D86C1980 4A000028
	ds_read_b32 v75, v40 offset:6592                           // 000000005DA4: D86C19C0 4B000028
	ds_read_b32 v76, v40 offset:8704                           // 000000005DAC: D86C2200 4C000028
	ds_read_b32 v77, v40 offset:8768                           // 000000005DB4: D86C2240 4D000028
	ds_read_b32 v78, v40 offset:10880                          // 000000005DBC: D86C2A80 4E000028
	ds_read_b32 v79, v40 offset:10944                          // 000000005DC4: D86C2AC0 4F000028
	s_waitcnt lgkmcnt(0)                                       // 000000005DCC: BF8CC07F
	s_cmp_eq_u32 s24, 0                                        // 000000005DD0: BF068018
	s_cbranch_scc0 label_0CFC                                  // 000000005DD4: BF840006
	s_mov_b32 s31, 0                                           // 000000005DD8: BE9F0080

0000000000005ddc <label_0CF7>:
	s_load_dword s32, s[40:41], s62 glc                        // 000000005DDC: C0010814 0000003E
	s_waitcnt lgkmcnt(0)                                       // 000000005DE4: BF8CC07F
	s_cmp_gt_u32 s32, s31                                      // 000000005DE8: BF081F20
	s_cbranch_scc0 label_0CF7                                  // 000000005DEC: BF84FFFB

0000000000005df0 <label_0CFC>:
	s_barrier                                                  // 000000005DF0: BF8A0000
	s_mul_i32 s31, s30, 8                                      // 000000005DF4: 921F881E
	v_mov_b32_e32 v4, v18                                      // 000000005DF8: 7E080312
	global_atomic_pk_add_bf16 v4, v68, s[16:17]                // 000000005DFC: DD488000 00104404
	v_add_u32_e64 v4, v4, s31                                  // 000000005E04: D1340004 00003F04
	global_atomic_pk_add_bf16 v4, v69, s[16:17]                // 000000005E0C: DD488000 00104504
	v_add_u32_e64 v4, v4, s31                                  // 000000005E14: D1340004 00003F04
	global_atomic_pk_add_bf16 v4, v70, s[16:17]                // 000000005E1C: DD488000 00104604
	v_add_u32_e64 v4, v4, s31                                  // 000000005E24: D1340004 00003F04
	global_atomic_pk_add_bf16 v4, v71, s[16:17]                // 000000005E2C: DD488000 00104704
	v_add_u32_e64 v4, v4, s31                                  // 000000005E34: D1340004 00003F04
	global_atomic_pk_add_bf16 v4, v72, s[16:17]                // 000000005E3C: DD488000 00104804
	v_add_u32_e64 v4, v4, s31                                  // 000000005E44: D1340004 00003F04
	global_atomic_pk_add_bf16 v4, v73, s[16:17]                // 000000005E4C: DD488000 00104904
	v_add_u32_e64 v4, v4, s31                                  // 000000005E54: D1340004 00003F04
	global_atomic_pk_add_bf16 v4, v74, s[16:17]                // 000000005E5C: DD488000 00104A04
	v_add_u32_e64 v4, v4, s31                                  // 000000005E64: D1340004 00003F04
	global_atomic_pk_add_bf16 v4, v75, s[16:17]                // 000000005E6C: DD488000 00104B04
	v_add_u32_e64 v4, v4, s31                                  // 000000005E74: D1340004 00003F04
	global_atomic_pk_add_bf16 v4, v76, s[16:17]                // 000000005E7C: DD488000 00104C04
	v_add_u32_e64 v4, v4, s31                                  // 000000005E84: D1340004 00003F04
	global_atomic_pk_add_bf16 v4, v77, s[16:17]                // 000000005E8C: DD488000 00104D04
	v_add_u32_e64 v4, v4, s31                                  // 000000005E94: D1340004 00003F04
	global_atomic_pk_add_bf16 v4, v78, s[16:17]                // 000000005E9C: DD488000 00104E04
	v_add_u32_e64 v4, v4, s31                                  // 000000005EA4: D1340004 00003F04
	global_atomic_pk_add_bf16 v4, v79, s[16:17]                // 000000005EAC: DD488000 00104F04
	v_add_u32_e64 v4, v4, s31                                  // 000000005EB4: D1340004 00003F04
	s_barrier                                                  // 000000005EBC: BF8A0000
	s_cmp_eq_u32 s24, 0                                        // 000000005EC0: BF068018
	s_cbranch_scc0 label_1109                                  // 000000005EC4: BF8403D7
	s_atomic_dec s52, s[40:41], s62                            // 000000005EC8: C2300D14 0000003E
	s_branch label_1109                                        // 000000005ED0: BF8203D4

0000000000005ed4 <label_0D35>:
	v_mov_b32_e32 v5, 0                                        // 000000005ED4: 7E0A0280
	s_and_b32 s17, s17, 0xffff                                 // 000000005ED8: 8611FF11 0000FFFF
	s_cmp_lt_u32 s54, 1                                        // 000000005EE0: BF0A8136
	s_cbranch_scc0 label_0E4D                                  // 000000005EE4: BF840113
	v_lshrrev_b32_e32 v4, 4, v0                                // 000000005EE8: 20080084
	v_mul_u32_u24_e32 v31, 0x44, v4                            // 000000005EEC: 103E08FF 00000044
	v_and_b32_e32 v4, 15, v0                                   // 000000005EF4: 2608008F
	v_mul_lo_u32 v5, 4, v4                                     // 000000005EF8: D2850005 00020884
	v_add_u32_e32 v31, v5, v31                                 // 000000005F00: 683E3F05
	s_mul_i32 s31, s24, 0x110                                  // 000000005F04: 921FFF18 00000110
	v_add_u32_e32 v31, s31, v31                                // 000000005F0C: 683E3E1F
	v_lshlrev_b32_e32 v31, 2, v31                              // 000000005F10: 243E3E82
	v_lshrrev_b32_e32 v4, 2, v0                                // 000000005F14: 20080082
	v_mul_u32_u24_e32 v40, 0x44, v4                            // 000000005F18: 105008FF 00000044
	v_and_b32_e32 v4, 3, v0                                    // 000000005F20: 26080083
	v_add_u32_e32 v40, v4, v40                                 // 000000005F24: 68505104
	s_mul_i32 s31, s24, 4                                      // 000000005F28: 921F8418
	v_add_u32_e32 v40, s31, v40                                // 000000005F2C: 6850501F
	v_lshlrev_b32_e32 v40, 2, v40                              // 000000005F30: 24505082
	s_lshr_b32 s31, s55, 2                                     // 000000005F34: 8F1F8237
	s_and_b32 s32, s55, 3                                      // 000000005F38: 86208337
	s_cmp_lt_u32 s24, s32                                      // 000000005F3C: BF0A2018
	s_cselect_b32 s32, 1, 0                                    // 000000005F40: 85208081
	s_add_u32 s55, s31, s32                                    // 000000005F44: 8037201F
	s_mov_b32 s33, 0                                           // 000000005F48: BEA10080
	s_waitcnt vmcnt(0) expcnt(0) lgkmcnt(0)                    // 000000005F4C: BF8C0000
	s_barrier                                                  // 000000005F50: BF8A0000
	ds_write_b128 v31, v[44:47]                                // 000000005F54: D9BE0000 00002C1F
	ds_write_b128 v31, v[48:51] offset:4352                    // 000000005F5C: D9BE1100 0000301F
	ds_write_b128 v31, v[52:55] offset:8704                    // 000000005F64: D9BE2200 0000341F
	ds_write_b128 v31, v[56:59] offset:13056                   // 000000005F6C: D9BE3300 0000381F
	ds_write_b128 v31, v[60:63] offset:17408                   // 000000005F74: D9BE4400 00003C1F
	ds_write_b128 v31, v[64:67] offset:21760                   // 000000005F7C: D9BE5500 0000401F
	s_waitcnt lgkmcnt(0)                                       // 000000005F84: BF8CC07F
	s_barrier                                                  // 000000005F88: BF8A0000
	ds_read_b32 v44, v40                                       // 000000005F8C: D86C0000 2C000028
	ds_read_b32 v45, v40 offset:64                             // 000000005F94: D86C0040 2D000028
	ds_read_b32 v46, v40 offset:128                            // 000000005F9C: D86C0080 2E000028
	ds_read_b32 v47, v40 offset:192                            // 000000005FA4: D86C00C0 2F000028
	ds_read_b32 v48, v40 offset:4352                           // 000000005FAC: D86C1100 30000028
	ds_read_b32 v49, v40 offset:4416                           // 000000005FB4: D86C1140 31000028
	ds_read_b32 v50, v40 offset:4480                           // 000000005FBC: D86C1180 32000028
	ds_read_b32 v51, v40 offset:4544                           // 000000005FC4: D86C11C0 33000028
	ds_read_b32 v52, v40 offset:8704                           // 000000005FCC: D86C2200 34000028
	ds_read_b32 v53, v40 offset:8768                           // 000000005FD4: D86C2240 35000028
	ds_read_b32 v54, v40 offset:8832                           // 000000005FDC: D86C2280 36000028
	ds_read_b32 v55, v40 offset:8896                           // 000000005FE4: D86C22C0 37000028
	ds_read_b32 v56, v40 offset:13056                          // 000000005FEC: D86C3300 38000028
	ds_read_b32 v57, v40 offset:13120                          // 000000005FF4: D86C3340 39000028
	ds_read_b32 v58, v40 offset:13184                          // 000000005FFC: D86C3380 3A000028
	ds_read_b32 v59, v40 offset:13248                          // 000000006004: D86C33C0 3B000028
	ds_read_b32 v60, v40 offset:17408                          // 00000000600C: D86C4400 3C000028
	ds_read_b32 v61, v40 offset:17472                          // 000000006014: D86C4440 3D000028
	ds_read_b32 v62, v40 offset:17536                          // 00000000601C: D86C4480 3E000028
	ds_read_b32 v63, v40 offset:17600                          // 000000006024: D86C44C0 3F000028
	ds_read_b32 v64, v40 offset:21760                          // 00000000602C: D86C5500 40000028
	ds_read_b32 v65, v40 offset:21824                          // 000000006034: D86C5540 41000028
	ds_read_b32 v66, v40 offset:21888                          // 00000000603C: D86C5580 42000028
	ds_read_b32 v67, v40 offset:21952                          // 000000006044: D86C55C0 43000028
	s_waitcnt lgkmcnt(0)                                       // 00000000604C: BF8CC07F
	s_cmp_eq_u32 s24, 0                                        // 000000006050: BF068018
	s_cbranch_scc0 label_0D9C                                  // 000000006054: BF840006
	s_mov_b32 s31, 0                                           // 000000006058: BE9F0080

000000000000605c <label_0D97>:
	s_load_dword s32, s[40:41], s62 glc                        // 00000000605C: C0010814 0000003E
	s_waitcnt lgkmcnt(0)                                       // 000000006064: BF8CC07F
	s_cmp_gt_u32 s32, s31                                      // 000000006068: BF081F20
	s_cbranch_scc0 label_0D97                                  // 00000000606C: BF84FFFB

0000000000006070 <label_0D9C>:
	s_barrier                                                  // 000000006070: BF8A0000
	s_mul_i32 s31, s30, 4                                      // 000000006074: 921F841E
	v_mov_b32_e32 v4, v18                                      // 000000006078: 7E080312
	s_cmp_lt_i32 s33, s55                                      // 00000000607C: BF043721
	s_cbranch_scc0 label_0E47                                  // 000000006080: BF8400A6
	global_atomic_add_f32 v4, v44, s[16:17]                    // 000000006084: DD348000 00102C04
	v_add_u32_e64 v4, v4, s31                                  // 00000000608C: D1340004 00003F04
	s_addk_i32 s33, 0x1                                        // 000000006094: B7210001
	s_cmp_lt_i32 s33, s55                                      // 000000006098: BF043721
	s_cbranch_scc0 label_0E47                                  // 00000000609C: BF84009F
	global_atomic_add_f32 v4, v45, s[16:17]                    // 0000000060A0: DD348000 00102D04
	v_add_u32_e64 v4, v4, s31                                  // 0000000060A8: D1340004 00003F04
	s_addk_i32 s33, 0x1                                        // 0000000060B0: B7210001
	s_cmp_lt_i32 s33, s55                                      // 0000000060B4: BF043721
	s_cbranch_scc0 label_0E47                                  // 0000000060B8: BF840098
	global_atomic_add_f32 v4, v46, s[16:17]                    // 0000000060BC: DD348000 00102E04
	v_add_u32_e64 v4, v4, s31                                  // 0000000060C4: D1340004 00003F04
	s_addk_i32 s33, 0x1                                        // 0000000060CC: B7210001
	s_cmp_lt_i32 s33, s55                                      // 0000000060D0: BF043721
	s_cbranch_scc0 label_0E47                                  // 0000000060D4: BF840091
	global_atomic_add_f32 v4, v47, s[16:17]                    // 0000000060D8: DD348000 00102F04
	v_add_u32_e64 v4, v4, s31                                  // 0000000060E0: D1340004 00003F04
	s_addk_i32 s33, 0x1                                        // 0000000060E8: B7210001
	s_cmp_lt_i32 s33, s55                                      // 0000000060EC: BF043721
	s_cbranch_scc0 label_0E47                                  // 0000000060F0: BF84008A
	global_atomic_add_f32 v4, v48, s[16:17]                    // 0000000060F4: DD348000 00103004
	v_add_u32_e64 v4, v4, s31                                  // 0000000060FC: D1340004 00003F04
	s_addk_i32 s33, 0x1                                        // 000000006104: B7210001
	s_cmp_lt_i32 s33, s55                                      // 000000006108: BF043721
	s_cbranch_scc0 label_0E47                                  // 00000000610C: BF840083
	global_atomic_add_f32 v4, v49, s[16:17]                    // 000000006110: DD348000 00103104
	v_add_u32_e64 v4, v4, s31                                  // 000000006118: D1340004 00003F04
	s_addk_i32 s33, 0x1                                        // 000000006120: B7210001
	s_cmp_lt_i32 s33, s55                                      // 000000006124: BF043721
	s_cbranch_scc0 label_0E47                                  // 000000006128: BF84007C
	global_atomic_add_f32 v4, v50, s[16:17]                    // 00000000612C: DD348000 00103204
	v_add_u32_e64 v4, v4, s31                                  // 000000006134: D1340004 00003F04
	s_addk_i32 s33, 0x1                                        // 00000000613C: B7210001
	s_cmp_lt_i32 s33, s55                                      // 000000006140: BF043721
	s_cbranch_scc0 label_0E47                                  // 000000006144: BF840075
	global_atomic_add_f32 v4, v51, s[16:17]                    // 000000006148: DD348000 00103304
	v_add_u32_e64 v4, v4, s31                                  // 000000006150: D1340004 00003F04
	s_addk_i32 s33, 0x1                                        // 000000006158: B7210001
	s_cmp_lt_i32 s33, s55                                      // 00000000615C: BF043721
	s_cbranch_scc0 label_0E47                                  // 000000006160: BF84006E
	global_atomic_add_f32 v4, v52, s[16:17]                    // 000000006164: DD348000 00103404
	v_add_u32_e64 v4, v4, s31                                  // 00000000616C: D1340004 00003F04
	s_addk_i32 s33, 0x1                                        // 000000006174: B7210001
	s_cmp_lt_i32 s33, s55                                      // 000000006178: BF043721
	s_cbranch_scc0 label_0E47                                  // 00000000617C: BF840067
	global_atomic_add_f32 v4, v53, s[16:17]                    // 000000006180: DD348000 00103504
	v_add_u32_e64 v4, v4, s31                                  // 000000006188: D1340004 00003F04
	s_addk_i32 s33, 0x1                                        // 000000006190: B7210001
	s_cmp_lt_i32 s33, s55                                      // 000000006194: BF043721
	s_cbranch_scc0 label_0E47                                  // 000000006198: BF840060
	global_atomic_add_f32 v4, v54, s[16:17]                    // 00000000619C: DD348000 00103604
	v_add_u32_e64 v4, v4, s31                                  // 0000000061A4: D1340004 00003F04
	s_addk_i32 s33, 0x1                                        // 0000000061AC: B7210001
	s_cmp_lt_i32 s33, s55                                      // 0000000061B0: BF043721
	s_cbranch_scc0 label_0E47                                  // 0000000061B4: BF840059
	global_atomic_add_f32 v4, v55, s[16:17]                    // 0000000061B8: DD348000 00103704
	v_add_u32_e64 v4, v4, s31                                  // 0000000061C0: D1340004 00003F04
	s_addk_i32 s33, 0x1                                        // 0000000061C8: B7210001
	s_cmp_lt_i32 s33, s55                                      // 0000000061CC: BF043721
	s_cbranch_scc0 label_0E47                                  // 0000000061D0: BF840052
	global_atomic_add_f32 v4, v56, s[16:17]                    // 0000000061D4: DD348000 00103804
	v_add_u32_e64 v4, v4, s31                                  // 0000000061DC: D1340004 00003F04
	s_addk_i32 s33, 0x1                                        // 0000000061E4: B7210001
	s_cmp_lt_i32 s33, s55                                      // 0000000061E8: BF043721
	s_cbranch_scc0 label_0E47                                  // 0000000061EC: BF84004B
	global_atomic_add_f32 v4, v57, s[16:17]                    // 0000000061F0: DD348000 00103904
	v_add_u32_e64 v4, v4, s31                                  // 0000000061F8: D1340004 00003F04
	s_addk_i32 s33, 0x1                                        // 000000006200: B7210001
	s_cmp_lt_i32 s33, s55                                      // 000000006204: BF043721
	s_cbranch_scc0 label_0E47                                  // 000000006208: BF840044
	global_atomic_add_f32 v4, v58, s[16:17]                    // 00000000620C: DD348000 00103A04
	v_add_u32_e64 v4, v4, s31                                  // 000000006214: D1340004 00003F04
	s_addk_i32 s33, 0x1                                        // 00000000621C: B7210001
	s_cmp_lt_i32 s33, s55                                      // 000000006220: BF043721
	s_cbranch_scc0 label_0E47                                  // 000000006224: BF84003D
	global_atomic_add_f32 v4, v59, s[16:17]                    // 000000006228: DD348000 00103B04
	v_add_u32_e64 v4, v4, s31                                  // 000000006230: D1340004 00003F04
	s_addk_i32 s33, 0x1                                        // 000000006238: B7210001
	s_cmp_lt_i32 s33, s55                                      // 00000000623C: BF043721
	s_cbranch_scc0 label_0E47                                  // 000000006240: BF840036
	global_atomic_add_f32 v4, v60, s[16:17]                    // 000000006244: DD348000 00103C04
	v_add_u32_e64 v4, v4, s31                                  // 00000000624C: D1340004 00003F04
	s_addk_i32 s33, 0x1                                        // 000000006254: B7210001
	s_cmp_lt_i32 s33, s55                                      // 000000006258: BF043721
	s_cbranch_scc0 label_0E47                                  // 00000000625C: BF84002F
	global_atomic_add_f32 v4, v61, s[16:17]                    // 000000006260: DD348000 00103D04
	v_add_u32_e64 v4, v4, s31                                  // 000000006268: D1340004 00003F04
	s_addk_i32 s33, 0x1                                        // 000000006270: B7210001
	s_cmp_lt_i32 s33, s55                                      // 000000006274: BF043721
	s_cbranch_scc0 label_0E47                                  // 000000006278: BF840028
	global_atomic_add_f32 v4, v62, s[16:17]                    // 00000000627C: DD348000 00103E04
	v_add_u32_e64 v4, v4, s31                                  // 000000006284: D1340004 00003F04
	s_addk_i32 s33, 0x1                                        // 00000000628C: B7210001
	s_cmp_lt_i32 s33, s55                                      // 000000006290: BF043721
	s_cbranch_scc0 label_0E47                                  // 000000006294: BF840021
	global_atomic_add_f32 v4, v63, s[16:17]                    // 000000006298: DD348000 00103F04
	v_add_u32_e64 v4, v4, s31                                  // 0000000062A0: D1340004 00003F04
	s_addk_i32 s33, 0x1                                        // 0000000062A8: B7210001
	s_cmp_lt_i32 s33, s55                                      // 0000000062AC: BF043721
	s_cbranch_scc0 label_0E47                                  // 0000000062B0: BF84001A
	global_atomic_add_f32 v4, v64, s[16:17]                    // 0000000062B4: DD348000 00104004
	v_add_u32_e64 v4, v4, s31                                  // 0000000062BC: D1340004 00003F04
	s_addk_i32 s33, 0x1                                        // 0000000062C4: B7210001
	s_cmp_lt_i32 s33, s55                                      // 0000000062C8: BF043721
	s_cbranch_scc0 label_0E47                                  // 0000000062CC: BF840013
	global_atomic_add_f32 v4, v65, s[16:17]                    // 0000000062D0: DD348000 00104104
	v_add_u32_e64 v4, v4, s31                                  // 0000000062D8: D1340004 00003F04
	s_addk_i32 s33, 0x1                                        // 0000000062E0: B7210001
	s_cmp_lt_i32 s33, s55                                      // 0000000062E4: BF043721
	s_cbranch_scc0 label_0E47                                  // 0000000062E8: BF84000C
	global_atomic_add_f32 v4, v66, s[16:17]                    // 0000000062EC: DD348000 00104204
	v_add_u32_e64 v4, v4, s31                                  // 0000000062F4: D1340004 00003F04
	s_addk_i32 s33, 0x1                                        // 0000000062FC: B7210001
	s_cmp_lt_i32 s33, s55                                      // 000000006300: BF043721
	s_cbranch_scc0 label_0E47                                  // 000000006304: BF840005
	global_atomic_add_f32 v4, v67, s[16:17]                    // 000000006308: DD348000 00104304
	v_add_u32_e64 v4, v4, s31                                  // 000000006310: D1340004 00003F04
	s_addk_i32 s33, 0x1                                        // 000000006318: B7210001

000000000000631c <label_0E47>:
	s_barrier                                                  // 00000000631C: BF8A0000
	s_cmp_eq_u32 s24, 0                                        // 000000006320: BF068018
	s_cbranch_scc0 label_1109                                  // 000000006324: BF8402BF
	s_atomic_dec s52, s[40:41], s62                            // 000000006328: C2300D14 0000003E
	s_branch label_1109                                        // 000000006330: BF8202BC

0000000000006334 <label_0E4D>:
	v_lshrrev_b32_e32 v4, 4, v0                                // 000000006334: 20080084
	v_mul_u32_u24_e32 v31, 34, v4                              // 000000006338: 103E08A2
	v_and_b32_e32 v4, 15, v0                                   // 00000000633C: 2608008F
	v_mul_lo_u32 v5, 2, v4                                     // 000000006340: D2850005 00020882
	v_add_u32_e32 v31, v5, v31                                 // 000000006348: 683E3F05
	s_mul_i32 s31, s24, 0x88                                   // 00000000634C: 921FFF18 00000088
	v_add_u32_e32 v31, s31, v31                                // 000000006354: 683E3E1F
	v_lshlrev_b32_e32 v31, 2, v31                              // 000000006358: 243E3E82
	v_and_b32_e32 v4, 31, v0                                   // 00000000635C: 2608009F
	v_lshrrev_b32_e32 v5, 1, v4                                // 000000006360: 200A0881
	v_mul_u32_u24_e32 v40, 34, v5                              // 000000006364: 10500AA2
	v_and_b32_e32 v5, 1, v4                                    // 000000006368: 260A0881
	v_add_u32_e32 v40, v5, v40                                 // 00000000636C: 68505105
	v_lshrrev_b32_e32 v4, 5, v0                                // 000000006370: 20080085
	v_mul_u32_u24_e32 v4, 8, v4                                // 000000006374: 10080888
	v_add_u32_e32 v40, v4, v40                                 // 000000006378: 68505104
	s_mul_i32 s31, s24, 2                                      // 00000000637C: 921F8218
	v_add_u32_e32 v40, s31, v40                                // 000000006380: 6850501F
	v_lshlrev_b32_e32 v40, 2, v40                              // 000000006384: 24505082
	s_lshr_b32 s31, s55, 2                                     // 000000006388: 8F1F8237
	s_and_b32 s32, s55, 3                                      // 00000000638C: 86208337
	s_cmp_lt_u32 s24, s32                                      // 000000006390: BF0A2018
	s_cselect_b32 s32, 1, 0                                    // 000000006394: 85208081
	s_add_u32 s55, s31, s32                                    // 000000006398: 8037201F
	s_mov_b32 s33, 0                                           // 00000000639C: BEA10080
	s_waitcnt vmcnt(0) expcnt(0) lgkmcnt(0)                    // 0000000063A0: BF8C0000
	s_barrier                                                  // 0000000063A4: BF8A0000
	v_cmp_u_f32_e64 s[60:61], v44, v44                         // 0000000063A8: D048003C 0002592C
	v_add3_u32 v8, v44, v11, 1                                 // 0000000063B0: D1FF0008 0206172C
	v_cndmask_b32_e64 v4, v8, v10, s[60:61]                    // 0000000063B8: D1000004 00F21508
	v_cmp_u_f32_e64 s[60:61], v45, v45                         // 0000000063C0: D048003C 00025B2D
	v_add3_u32 v8, v45, v11, 1                                 // 0000000063C8: D1FF0008 0206172D
	v_cndmask_b32_e64 v5, v8, v10, s[60:61]                    // 0000000063D0: D1000005 00F21508
	v_perm_b32 v68, v5, v4, s35                                // 0000000063D8: D1ED0044 008E0905
	v_cmp_u_f32_e64 s[60:61], v46, v46                         // 0000000063E0: D048003C 00025D2E
	v_add3_u32 v8, v46, v11, 1                                 // 0000000063E8: D1FF0008 0206172E
	v_cndmask_b32_e64 v4, v8, v10, s[60:61]                    // 0000000063F0: D1000004 00F21508
	v_cmp_u_f32_e64 s[60:61], v47, v47                         // 0000000063F8: D048003C 00025F2F
	v_add3_u32 v8, v47, v11, 1                                 // 000000006400: D1FF0008 0206172F
	v_cndmask_b32_e64 v5, v8, v10, s[60:61]                    // 000000006408: D1000005 00F21508
	v_perm_b32 v69, v5, v4, s35                                // 000000006410: D1ED0045 008E0905
	v_cmp_u_f32_e64 s[60:61], v48, v48                         // 000000006418: D048003C 00026130
	v_add3_u32 v8, v48, v11, 1                                 // 000000006420: D1FF0008 02061730
	v_cndmask_b32_e64 v4, v8, v10, s[60:61]                    // 000000006428: D1000004 00F21508
	v_cmp_u_f32_e64 s[60:61], v49, v49                         // 000000006430: D048003C 00026331
	v_add3_u32 v8, v49, v11, 1                                 // 000000006438: D1FF0008 02061731
	v_cndmask_b32_e64 v5, v8, v10, s[60:61]                    // 000000006440: D1000005 00F21508
	v_perm_b32 v70, v5, v4, s35                                // 000000006448: D1ED0046 008E0905
	v_cmp_u_f32_e64 s[60:61], v50, v50                         // 000000006450: D048003C 00026532
	v_add3_u32 v8, v50, v11, 1                                 // 000000006458: D1FF0008 02061732
	v_cndmask_b32_e64 v4, v8, v10, s[60:61]                    // 000000006460: D1000004 00F21508
	v_cmp_u_f32_e64 s[60:61], v51, v51                         // 000000006468: D048003C 00026733
	v_add3_u32 v8, v51, v11, 1                                 // 000000006470: D1FF0008 02061733
	v_cndmask_b32_e64 v5, v8, v10, s[60:61]                    // 000000006478: D1000005 00F21508
	v_perm_b32 v71, v5, v4, s35                                // 000000006480: D1ED0047 008E0905
	v_cmp_u_f32_e64 s[60:61], v52, v52                         // 000000006488: D048003C 00026934
	v_add3_u32 v8, v52, v11, 1                                 // 000000006490: D1FF0008 02061734
	v_cndmask_b32_e64 v4, v8, v10, s[60:61]                    // 000000006498: D1000004 00F21508
	v_cmp_u_f32_e64 s[60:61], v53, v53                         // 0000000064A0: D048003C 00026B35
	v_add3_u32 v8, v53, v11, 1                                 // 0000000064A8: D1FF0008 02061735
	v_cndmask_b32_e64 v5, v8, v10, s[60:61]                    // 0000000064B0: D1000005 00F21508
	v_perm_b32 v72, v5, v4, s35                                // 0000000064B8: D1ED0048 008E0905
	v_cmp_u_f32_e64 s[60:61], v54, v54                         // 0000000064C0: D048003C 00026D36
	v_add3_u32 v8, v54, v11, 1                                 // 0000000064C8: D1FF0008 02061736
	v_cndmask_b32_e64 v4, v8, v10, s[60:61]                    // 0000000064D0: D1000004 00F21508
	v_cmp_u_f32_e64 s[60:61], v55, v55                         // 0000000064D8: D048003C 00026F37
	v_add3_u32 v8, v55, v11, 1                                 // 0000000064E0: D1FF0008 02061737
	v_cndmask_b32_e64 v5, v8, v10, s[60:61]                    // 0000000064E8: D1000005 00F21508
	v_perm_b32 v73, v5, v4, s35                                // 0000000064F0: D1ED0049 008E0905
	v_cmp_u_f32_e64 s[60:61], v56, v56                         // 0000000064F8: D048003C 00027138
	v_add3_u32 v8, v56, v11, 1                                 // 000000006500: D1FF0008 02061738
	v_cndmask_b32_e64 v4, v8, v10, s[60:61]                    // 000000006508: D1000004 00F21508
	v_cmp_u_f32_e64 s[60:61], v57, v57                         // 000000006510: D048003C 00027339
	v_add3_u32 v8, v57, v11, 1                                 // 000000006518: D1FF0008 02061739
	v_cndmask_b32_e64 v5, v8, v10, s[60:61]                    // 000000006520: D1000005 00F21508
	v_perm_b32 v74, v5, v4, s35                                // 000000006528: D1ED004A 008E0905
	v_cmp_u_f32_e64 s[60:61], v58, v58                         // 000000006530: D048003C 0002753A
	v_add3_u32 v8, v58, v11, 1                                 // 000000006538: D1FF0008 0206173A
	v_cndmask_b32_e64 v4, v8, v10, s[60:61]                    // 000000006540: D1000004 00F21508
	v_cmp_u_f32_e64 s[60:61], v59, v59                         // 000000006548: D048003C 0002773B
	v_add3_u32 v8, v59, v11, 1                                 // 000000006550: D1FF0008 0206173B
	v_cndmask_b32_e64 v5, v8, v10, s[60:61]                    // 000000006558: D1000005 00F21508
	v_perm_b32 v75, v5, v4, s35                                // 000000006560: D1ED004B 008E0905
	v_cmp_u_f32_e64 s[60:61], v60, v60                         // 000000006568: D048003C 0002793C
	v_add3_u32 v8, v60, v11, 1                                 // 000000006570: D1FF0008 0206173C
	v_cndmask_b32_e64 v4, v8, v10, s[60:61]                    // 000000006578: D1000004 00F21508
	v_cmp_u_f32_e64 s[60:61], v61, v61                         // 000000006580: D048003C 00027B3D
	v_add3_u32 v8, v61, v11, 1                                 // 000000006588: D1FF0008 0206173D
	v_cndmask_b32_e64 v5, v8, v10, s[60:61]                    // 000000006590: D1000005 00F21508
	v_perm_b32 v76, v5, v4, s35                                // 000000006598: D1ED004C 008E0905
	v_cmp_u_f32_e64 s[60:61], v62, v62                         // 0000000065A0: D048003C 00027D3E
	v_add3_u32 v8, v62, v11, 1                                 // 0000000065A8: D1FF0008 0206173E
	v_cndmask_b32_e64 v4, v8, v10, s[60:61]                    // 0000000065B0: D1000004 00F21508
	v_cmp_u_f32_e64 s[60:61], v63, v63                         // 0000000065B8: D048003C 00027F3F
	v_add3_u32 v8, v63, v11, 1                                 // 0000000065C0: D1FF0008 0206173F
	v_cndmask_b32_e64 v5, v8, v10, s[60:61]                    // 0000000065C8: D1000005 00F21508
	v_perm_b32 v77, v5, v4, s35                                // 0000000065D0: D1ED004D 008E0905
	v_cmp_u_f32_e64 s[60:61], v64, v64                         // 0000000065D8: D048003C 00028140
	v_add3_u32 v8, v64, v11, 1                                 // 0000000065E0: D1FF0008 02061740
	v_cndmask_b32_e64 v4, v8, v10, s[60:61]                    // 0000000065E8: D1000004 00F21508
	v_cmp_u_f32_e64 s[60:61], v65, v65                         // 0000000065F0: D048003C 00028341
	v_add3_u32 v8, v65, v11, 1                                 // 0000000065F8: D1FF0008 02061741
	v_cndmask_b32_e64 v5, v8, v10, s[60:61]                    // 000000006600: D1000005 00F21508
	v_perm_b32 v78, v5, v4, s35                                // 000000006608: D1ED004E 008E0905
	v_cmp_u_f32_e64 s[60:61], v66, v66                         // 000000006610: D048003C 00028542
	v_add3_u32 v8, v66, v11, 1                                 // 000000006618: D1FF0008 02061742
	v_cndmask_b32_e64 v4, v8, v10, s[60:61]                    // 000000006620: D1000004 00F21508
	v_cmp_u_f32_e64 s[60:61], v67, v67                         // 000000006628: D048003C 00028743
	v_add3_u32 v8, v67, v11, 1                                 // 000000006630: D1FF0008 02061743
	v_cndmask_b32_e64 v5, v8, v10, s[60:61]                    // 000000006638: D1000005 00F21508
	v_perm_b32 v79, v5, v4, s35                                // 000000006640: D1ED004F 008E0905
	ds_write_b64 v31, v[68:69]                                 // 000000006648: D89A0000 0000441F
	ds_write_b64 v31, v[70:71] offset:2176                     // 000000006650: D89A0880 0000461F
	ds_write_b64 v31, v[72:73] offset:4352                     // 000000006658: D89A1100 0000481F
	ds_write_b64 v31, v[74:75] offset:6528                     // 000000006660: D89A1980 00004A1F
	ds_write_b64 v31, v[76:77] offset:8704                     // 000000006668: D89A2200 00004C1F
	ds_write_b64 v31, v[78:79] offset:10880                    // 000000006670: D89A2A80 00004E1F
	s_waitcnt lgkmcnt(0)                                       // 000000006678: BF8CC07F
	s_barrier                                                  // 00000000667C: BF8A0000
	ds_read_b32 v68, v40                                       // 000000006680: D86C0000 44000028
	ds_read_b32 v69, v40 offset:64                             // 000000006688: D86C0040 45000028
	ds_read_b32 v70, v40 offset:2176                           // 000000006690: D86C0880 46000028
	ds_read_b32 v71, v40 offset:2240                           // 000000006698: D86C08C0 47000028
	ds_read_b32 v72, v40 offset:4352                           // 0000000066A0: D86C1100 48000028
	ds_read_b32 v73, v40 offset:4416                           // 0000000066A8: D86C1140 49000028
	ds_read_b32 v74, v40 offset:6528                           // 0000000066B0: D86C1980 4A000028
	ds_read_b32 v75, v40 offset:6592                           // 0000000066B8: D86C19C0 4B000028
	ds_read_b32 v76, v40 offset:8704                           // 0000000066C0: D86C2200 4C000028
	ds_read_b32 v77, v40 offset:8768                           // 0000000066C8: D86C2240 4D000028
	ds_read_b32 v78, v40 offset:10880                          // 0000000066D0: D86C2A80 4E000028
	ds_read_b32 v79, v40 offset:10944                          // 0000000066D8: D86C2AC0 4F000028
	s_waitcnt lgkmcnt(0)                                       // 0000000066E0: BF8CC07F
	s_cmp_eq_u32 s24, 0                                        // 0000000066E4: BF068018
	s_cbranch_scc0 label_0F41                                  // 0000000066E8: BF840006
	s_mov_b32 s31, 0                                           // 0000000066EC: BE9F0080

00000000000066f0 <label_0F3C>:
	s_load_dword s32, s[40:41], s62 glc                        // 0000000066F0: C0010814 0000003E
	s_waitcnt lgkmcnt(0)                                       // 0000000066F8: BF8CC07F
	s_cmp_gt_u32 s32, s31                                      // 0000000066FC: BF081F20
	s_cbranch_scc0 label_0F3C                                  // 000000006700: BF84FFFB

0000000000006704 <label_0F41>:
	s_barrier                                                  // 000000006704: BF8A0000
	s_mul_i32 s31, s30, 8                                      // 000000006708: 921F881E
	v_mov_b32_e32 v4, v18                                      // 00000000670C: 7E080312
	s_cmp_lt_i32 s33, s55                                      // 000000006710: BF043721
	s_cbranch_scc0 label_1040                                  // 000000006714: BF8400FA
	s_mov_b32 s58, -1                                          // 000000006718: BEBA00C1
	s_mov_b32 s59, 0                                           // 00000000671C: BEBB0080
	s_mov_b64 exec, s[58:59]                                   // 000000006720: BEFE013A
	global_atomic_pk_add_bf16 v4, v68, s[16:17]                // 000000006724: DD488000 00104404
	s_addk_i32 s33, 0x1                                        // 00000000672C: B7210001
	s_cmp_lt_i32 s33, s55                                      // 000000006730: BF043721
	s_cbranch_scc0 label_1040                                  // 000000006734: BF8400F2
	s_mov_b32 s58, 0                                           // 000000006738: BEBA0080
	s_mov_b32 s59, -1                                          // 00000000673C: BEBB00C1
	s_mov_b64 exec, s[58:59]                                   // 000000006740: BEFE013A
	global_atomic_pk_add_bf16 v4, v68, s[16:17]                // 000000006744: DD488000 00104404
	s_addk_i32 s33, 0x1                                        // 00000000674C: B7210001
	s_mov_b32 s58, -1                                          // 000000006750: BEBA00C1
	s_mov_b32 s59, -1                                          // 000000006754: BEBB00C1
	s_mov_b64 exec, s[58:59]                                   // 000000006758: BEFE013A
	v_add_u32_e64 v4, v4, s31                                  // 00000000675C: D1340004 00003F04
	s_cmp_lt_i32 s33, s55                                      // 000000006764: BF043721
	s_cbranch_scc0 label_1040                                  // 000000006768: BF8400E5
	s_mov_b32 s58, -1                                          // 00000000676C: BEBA00C1
	s_mov_b32 s59, 0                                           // 000000006770: BEBB0080
	s_mov_b64 exec, s[58:59]                                   // 000000006774: BEFE013A
	global_atomic_pk_add_bf16 v4, v69, s[16:17]                // 000000006778: DD488000 00104504
	s_addk_i32 s33, 0x1                                        // 000000006780: B7210001
	s_cmp_lt_i32 s33, s55                                      // 000000006784: BF043721
	s_cbranch_scc0 label_1040                                  // 000000006788: BF8400DD
	s_mov_b32 s58, 0                                           // 00000000678C: BEBA0080
	s_mov_b32 s59, -1                                          // 000000006790: BEBB00C1
	s_mov_b64 exec, s[58:59]                                   // 000000006794: BEFE013A
	global_atomic_pk_add_bf16 v4, v69, s[16:17]                // 000000006798: DD488000 00104504
	s_addk_i32 s33, 0x1                                        // 0000000067A0: B7210001
	s_mov_b32 s58, -1                                          // 0000000067A4: BEBA00C1
	s_mov_b32 s59, -1                                          // 0000000067A8: BEBB00C1
	s_mov_b64 exec, s[58:59]                                   // 0000000067AC: BEFE013A
	v_add_u32_e64 v4, v4, s31                                  // 0000000067B0: D1340004 00003F04
	s_cmp_lt_i32 s33, s55                                      // 0000000067B8: BF043721
	s_cbranch_scc0 label_1040                                  // 0000000067BC: BF8400D0
	s_mov_b32 s58, -1                                          // 0000000067C0: BEBA00C1
	s_mov_b32 s59, 0                                           // 0000000067C4: BEBB0080
	s_mov_b64 exec, s[58:59]                                   // 0000000067C8: BEFE013A
	global_atomic_pk_add_bf16 v4, v70, s[16:17]                // 0000000067CC: DD488000 00104604
	s_addk_i32 s33, 0x1                                        // 0000000067D4: B7210001
	s_cmp_lt_i32 s33, s55                                      // 0000000067D8: BF043721
	s_cbranch_scc0 label_1040                                  // 0000000067DC: BF8400C8
	s_mov_b32 s58, 0                                           // 0000000067E0: BEBA0080
	s_mov_b32 s59, -1                                          // 0000000067E4: BEBB00C1
	s_mov_b64 exec, s[58:59]                                   // 0000000067E8: BEFE013A
	global_atomic_pk_add_bf16 v4, v70, s[16:17]                // 0000000067EC: DD488000 00104604
	s_addk_i32 s33, 0x1                                        // 0000000067F4: B7210001
	s_mov_b32 s58, -1                                          // 0000000067F8: BEBA00C1
	s_mov_b32 s59, -1                                          // 0000000067FC: BEBB00C1
	s_mov_b64 exec, s[58:59]                                   // 000000006800: BEFE013A
	v_add_u32_e64 v4, v4, s31                                  // 000000006804: D1340004 00003F04
	s_cmp_lt_i32 s33, s55                                      // 00000000680C: BF043721
	s_cbranch_scc0 label_1040                                  // 000000006810: BF8400BB
	s_mov_b32 s58, -1                                          // 000000006814: BEBA00C1
	s_mov_b32 s59, 0                                           // 000000006818: BEBB0080
	s_mov_b64 exec, s[58:59]                                   // 00000000681C: BEFE013A
	global_atomic_pk_add_bf16 v4, v71, s[16:17]                // 000000006820: DD488000 00104704
	s_addk_i32 s33, 0x1                                        // 000000006828: B7210001
	s_cmp_lt_i32 s33, s55                                      // 00000000682C: BF043721
	s_cbranch_scc0 label_1040                                  // 000000006830: BF8400B3
	s_mov_b32 s58, 0                                           // 000000006834: BEBA0080
	s_mov_b32 s59, -1                                          // 000000006838: BEBB00C1
	s_mov_b64 exec, s[58:59]                                   // 00000000683C: BEFE013A
	global_atomic_pk_add_bf16 v4, v71, s[16:17]                // 000000006840: DD488000 00104704
	s_addk_i32 s33, 0x1                                        // 000000006848: B7210001
	s_mov_b32 s58, -1                                          // 00000000684C: BEBA00C1
	s_mov_b32 s59, -1                                          // 000000006850: BEBB00C1
	s_mov_b64 exec, s[58:59]                                   // 000000006854: BEFE013A
	v_add_u32_e64 v4, v4, s31                                  // 000000006858: D1340004 00003F04
	s_cmp_lt_i32 s33, s55                                      // 000000006860: BF043721
	s_cbranch_scc0 label_1040                                  // 000000006864: BF8400A6
	s_mov_b32 s58, -1                                          // 000000006868: BEBA00C1
	s_mov_b32 s59, 0                                           // 00000000686C: BEBB0080
	s_mov_b64 exec, s[58:59]                                   // 000000006870: BEFE013A
	global_atomic_pk_add_bf16 v4, v72, s[16:17]                // 000000006874: DD488000 00104804
	s_addk_i32 s33, 0x1                                        // 00000000687C: B7210001
	s_cmp_lt_i32 s33, s55                                      // 000000006880: BF043721
	s_cbranch_scc0 label_1040                                  // 000000006884: BF84009E
	s_mov_b32 s58, 0                                           // 000000006888: BEBA0080
	s_mov_b32 s59, -1                                          // 00000000688C: BEBB00C1
	s_mov_b64 exec, s[58:59]                                   // 000000006890: BEFE013A
	global_atomic_pk_add_bf16 v4, v72, s[16:17]                // 000000006894: DD488000 00104804
	s_addk_i32 s33, 0x1                                        // 00000000689C: B7210001
	s_mov_b32 s58, -1                                          // 0000000068A0: BEBA00C1
	s_mov_b32 s59, -1                                          // 0000000068A4: BEBB00C1
	s_mov_b64 exec, s[58:59]                                   // 0000000068A8: BEFE013A
	v_add_u32_e64 v4, v4, s31                                  // 0000000068AC: D1340004 00003F04
	s_cmp_lt_i32 s33, s55                                      // 0000000068B4: BF043721
	s_cbranch_scc0 label_1040                                  // 0000000068B8: BF840091
	s_mov_b32 s58, -1                                          // 0000000068BC: BEBA00C1
	s_mov_b32 s59, 0                                           // 0000000068C0: BEBB0080
	s_mov_b64 exec, s[58:59]                                   // 0000000068C4: BEFE013A
	global_atomic_pk_add_bf16 v4, v73, s[16:17]                // 0000000068C8: DD488000 00104904
	s_addk_i32 s33, 0x1                                        // 0000000068D0: B7210001
	s_cmp_lt_i32 s33, s55                                      // 0000000068D4: BF043721
	s_cbranch_scc0 label_1040                                  // 0000000068D8: BF840089
	s_mov_b32 s58, 0                                           // 0000000068DC: BEBA0080
	s_mov_b32 s59, -1                                          // 0000000068E0: BEBB00C1
	s_mov_b64 exec, s[58:59]                                   // 0000000068E4: BEFE013A
	global_atomic_pk_add_bf16 v4, v73, s[16:17]                // 0000000068E8: DD488000 00104904
	s_addk_i32 s33, 0x1                                        // 0000000068F0: B7210001
	s_mov_b32 s58, -1                                          // 0000000068F4: BEBA00C1
	s_mov_b32 s59, -1                                          // 0000000068F8: BEBB00C1
	s_mov_b64 exec, s[58:59]                                   // 0000000068FC: BEFE013A
	v_add_u32_e64 v4, v4, s31                                  // 000000006900: D1340004 00003F04
	s_cmp_lt_i32 s33, s55                                      // 000000006908: BF043721
	s_cbranch_scc0 label_1040                                  // 00000000690C: BF84007C
	s_mov_b32 s58, -1                                          // 000000006910: BEBA00C1
	s_mov_b32 s59, 0                                           // 000000006914: BEBB0080
	s_mov_b64 exec, s[58:59]                                   // 000000006918: BEFE013A
	global_atomic_pk_add_bf16 v4, v74, s[16:17]                // 00000000691C: DD488000 00104A04
	s_addk_i32 s33, 0x1                                        // 000000006924: B7210001
	s_cmp_lt_i32 s33, s55                                      // 000000006928: BF043721
	s_cbranch_scc0 label_1040                                  // 00000000692C: BF840074
	s_mov_b32 s58, 0                                           // 000000006930: BEBA0080
	s_mov_b32 s59, -1                                          // 000000006934: BEBB00C1
	s_mov_b64 exec, s[58:59]                                   // 000000006938: BEFE013A
	global_atomic_pk_add_bf16 v4, v74, s[16:17]                // 00000000693C: DD488000 00104A04
	s_addk_i32 s33, 0x1                                        // 000000006944: B7210001
	s_mov_b32 s58, -1                                          // 000000006948: BEBA00C1
	s_mov_b32 s59, -1                                          // 00000000694C: BEBB00C1
	s_mov_b64 exec, s[58:59]                                   // 000000006950: BEFE013A
	v_add_u32_e64 v4, v4, s31                                  // 000000006954: D1340004 00003F04
	s_cmp_lt_i32 s33, s55                                      // 00000000695C: BF043721
	s_cbranch_scc0 label_1040                                  // 000000006960: BF840067
	s_mov_b32 s58, -1                                          // 000000006964: BEBA00C1
	s_mov_b32 s59, 0                                           // 000000006968: BEBB0080
	s_mov_b64 exec, s[58:59]                                   // 00000000696C: BEFE013A
	global_atomic_pk_add_bf16 v4, v75, s[16:17]                // 000000006970: DD488000 00104B04
	s_addk_i32 s33, 0x1                                        // 000000006978: B7210001
	s_cmp_lt_i32 s33, s55                                      // 00000000697C: BF043721
	s_cbranch_scc0 label_1040                                  // 000000006980: BF84005F
	s_mov_b32 s58, 0                                           // 000000006984: BEBA0080
	s_mov_b32 s59, -1                                          // 000000006988: BEBB00C1
	s_mov_b64 exec, s[58:59]                                   // 00000000698C: BEFE013A
	global_atomic_pk_add_bf16 v4, v75, s[16:17]                // 000000006990: DD488000 00104B04
	s_addk_i32 s33, 0x1                                        // 000000006998: B7210001
	s_mov_b32 s58, -1                                          // 00000000699C: BEBA00C1
	s_mov_b32 s59, -1                                          // 0000000069A0: BEBB00C1
	s_mov_b64 exec, s[58:59]                                   // 0000000069A4: BEFE013A
	v_add_u32_e64 v4, v4, s31                                  // 0000000069A8: D1340004 00003F04
	s_cmp_lt_i32 s33, s55                                      // 0000000069B0: BF043721
	s_cbranch_scc0 label_1040                                  // 0000000069B4: BF840052
	s_mov_b32 s58, -1                                          // 0000000069B8: BEBA00C1
	s_mov_b32 s59, 0                                           // 0000000069BC: BEBB0080
	s_mov_b64 exec, s[58:59]                                   // 0000000069C0: BEFE013A
	global_atomic_pk_add_bf16 v4, v76, s[16:17]                // 0000000069C4: DD488000 00104C04
	s_addk_i32 s33, 0x1                                        // 0000000069CC: B7210001
	s_cmp_lt_i32 s33, s55                                      // 0000000069D0: BF043721
	s_cbranch_scc0 label_1040                                  // 0000000069D4: BF84004A
	s_mov_b32 s58, 0                                           // 0000000069D8: BEBA0080
	s_mov_b32 s59, -1                                          // 0000000069DC: BEBB00C1
	s_mov_b64 exec, s[58:59]                                   // 0000000069E0: BEFE013A
	global_atomic_pk_add_bf16 v4, v76, s[16:17]                // 0000000069E4: DD488000 00104C04
	s_addk_i32 s33, 0x1                                        // 0000000069EC: B7210001
	s_mov_b32 s58, -1                                          // 0000000069F0: BEBA00C1
	s_mov_b32 s59, -1                                          // 0000000069F4: BEBB00C1
	s_mov_b64 exec, s[58:59]                                   // 0000000069F8: BEFE013A
	v_add_u32_e64 v4, v4, s31                                  // 0000000069FC: D1340004 00003F04
	s_cmp_lt_i32 s33, s55                                      // 000000006A04: BF043721
	s_cbranch_scc0 label_1040                                  // 000000006A08: BF84003D
	s_mov_b32 s58, -1                                          // 000000006A0C: BEBA00C1
	s_mov_b32 s59, 0                                           // 000000006A10: BEBB0080
	s_mov_b64 exec, s[58:59]                                   // 000000006A14: BEFE013A
	global_atomic_pk_add_bf16 v4, v77, s[16:17]                // 000000006A18: DD488000 00104D04
	s_addk_i32 s33, 0x1                                        // 000000006A20: B7210001
	s_cmp_lt_i32 s33, s55                                      // 000000006A24: BF043721
	s_cbranch_scc0 label_1040                                  // 000000006A28: BF840035
	s_mov_b32 s58, 0                                           // 000000006A2C: BEBA0080
	s_mov_b32 s59, -1                                          // 000000006A30: BEBB00C1
	s_mov_b64 exec, s[58:59]                                   // 000000006A34: BEFE013A
	global_atomic_pk_add_bf16 v4, v77, s[16:17]                // 000000006A38: DD488000 00104D04
	s_addk_i32 s33, 0x1                                        // 000000006A40: B7210001
	s_mov_b32 s58, -1                                          // 000000006A44: BEBA00C1
	s_mov_b32 s59, -1                                          // 000000006A48: BEBB00C1
	s_mov_b64 exec, s[58:59]                                   // 000000006A4C: BEFE013A
	v_add_u32_e64 v4, v4, s31                                  // 000000006A50: D1340004 00003F04
	s_cmp_lt_i32 s33, s55                                      // 000000006A58: BF043721
	s_cbranch_scc0 label_1040                                  // 000000006A5C: BF840028
	s_mov_b32 s58, -1                                          // 000000006A60: BEBA00C1
	s_mov_b32 s59, 0                                           // 000000006A64: BEBB0080
	s_mov_b64 exec, s[58:59]                                   // 000000006A68: BEFE013A
	global_atomic_pk_add_bf16 v4, v78, s[16:17]                // 000000006A6C: DD488000 00104E04
	s_addk_i32 s33, 0x1                                        // 000000006A74: B7210001
	s_cmp_lt_i32 s33, s55                                      // 000000006A78: BF043721
	s_cbranch_scc0 label_1040                                  // 000000006A7C: BF840020
	s_mov_b32 s58, 0                                           // 000000006A80: BEBA0080
	s_mov_b32 s59, -1                                          // 000000006A84: BEBB00C1
	s_mov_b64 exec, s[58:59]                                   // 000000006A88: BEFE013A
	global_atomic_pk_add_bf16 v4, v78, s[16:17]                // 000000006A8C: DD488000 00104E04
	s_addk_i32 s33, 0x1                                        // 000000006A94: B7210001
	s_mov_b32 s58, -1                                          // 000000006A98: BEBA00C1
	s_mov_b32 s59, -1                                          // 000000006A9C: BEBB00C1
	s_mov_b64 exec, s[58:59]                                   // 000000006AA0: BEFE013A
	v_add_u32_e64 v4, v4, s31                                  // 000000006AA4: D1340004 00003F04
	s_cmp_lt_i32 s33, s55                                      // 000000006AAC: BF043721
	s_cbranch_scc0 label_1040                                  // 000000006AB0: BF840013
	s_mov_b32 s58, -1                                          // 000000006AB4: BEBA00C1
	s_mov_b32 s59, 0                                           // 000000006AB8: BEBB0080
	s_mov_b64 exec, s[58:59]                                   // 000000006ABC: BEFE013A
	global_atomic_pk_add_bf16 v4, v79, s[16:17]                // 000000006AC0: DD488000 00104F04
	s_addk_i32 s33, 0x1                                        // 000000006AC8: B7210001
	s_cmp_lt_i32 s33, s55                                      // 000000006ACC: BF043721
	s_cbranch_scc0 label_1040                                  // 000000006AD0: BF84000B
	s_mov_b32 s58, 0                                           // 000000006AD4: BEBA0080
	s_mov_b32 s59, -1                                          // 000000006AD8: BEBB00C1
	s_mov_b64 exec, s[58:59]                                   // 000000006ADC: BEFE013A
	global_atomic_pk_add_bf16 v4, v79, s[16:17]                // 000000006AE0: DD488000 00104F04
	s_addk_i32 s33, 0x1                                        // 000000006AE8: B7210001
	s_mov_b32 s58, -1                                          // 000000006AEC: BEBA00C1
	s_mov_b32 s59, -1                                          // 000000006AF0: BEBB00C1
	s_mov_b64 exec, s[58:59]                                   // 000000006AF4: BEFE013A
	v_add_u32_e64 v4, v4, s31                                  // 000000006AF8: D1340004 00003F04

0000000000006b00 <label_1040>:
	s_barrier                                                  // 000000006B00: BF8A0000
	s_cmp_eq_u32 s24, 0                                        // 000000006B04: BF068018
	s_cbranch_scc0 label_1109                                  // 000000006B08: BF8400C6
	s_atomic_dec s52, s[40:41], s62                            // 000000006B0C: C2300D14 0000003E
	s_branch label_1109                                        // 000000006B14: BF8200C3

0000000000006b18 <label_1046>:
	s_cmp_lt_u32 s54, 1                                        // 000000006B18: BF0A8136
	s_cbranch_scc0 label_1055                                  // 000000006B1C: BF84000D
	buffer_store_dwordx4 v[44:47], v12, s[16:19], 0 offen      // 000000006B20: E07C1000 80042C0C
	buffer_store_dwordx4 v[48:51], v13, s[16:19], 0 offen      // 000000006B28: E07C1000 8004300D
	buffer_store_dwordx4 v[52:55], v14, s[16:19], 0 offen      // 000000006B30: E07C1000 8004340E
	buffer_store_dwordx4 v[56:59], v15, s[16:19], 0 offen      // 000000006B38: E07C1000 8004380F
	buffer_store_dwordx4 v[60:63], v16, s[16:19], 0 offen      // 000000006B40: E07C1000 80043C10
	buffer_store_dwordx4 v[64:67], v17, s[16:19], 0 offen      // 000000006B48: E07C1000 80044011
	s_branch label_1109                                        // 000000006B50: BF8200B4

0000000000006b54 <label_1055>:
	v_cmp_u_f32_e64 s[60:61], v44, v44                         // 000000006B54: D048003C 0002592C
	v_add3_u32 v8, v44, v11, 1                                 // 000000006B5C: D1FF0008 0206172C
	v_cndmask_b32_e64 v4, v8, v10, s[60:61]                    // 000000006B64: D1000004 00F21508
	v_cmp_u_f32_e64 s[60:61], v45, v45                         // 000000006B6C: D048003C 00025B2D
	v_add3_u32 v8, v45, v11, 1                                 // 000000006B74: D1FF0008 0206172D
	v_cndmask_b32_e64 v5, v8, v10, s[60:61]                    // 000000006B7C: D1000005 00F21508
	v_perm_b32 v68, v5, v4, s35                                // 000000006B84: D1ED0044 008E0905
	v_cmp_u_f32_e64 s[60:61], v46, v46                         // 000000006B8C: D048003C 00025D2E
	v_add3_u32 v8, v46, v11, 1                                 // 000000006B94: D1FF0008 0206172E
	v_cndmask_b32_e64 v4, v8, v10, s[60:61]                    // 000000006B9C: D1000004 00F21508
	v_cmp_u_f32_e64 s[60:61], v47, v47                         // 000000006BA4: D048003C 00025F2F
	v_add3_u32 v8, v47, v11, 1                                 // 000000006BAC: D1FF0008 0206172F
	v_cndmask_b32_e64 v5, v8, v10, s[60:61]                    // 000000006BB4: D1000005 00F21508
	v_perm_b32 v69, v5, v4, s35                                // 000000006BBC: D1ED0045 008E0905
	buffer_store_dwordx2 v[68:69], v12, s[16:19], 0 offen      // 000000006BC4: E0741000 8004440C
	v_cmp_u_f32_e64 s[60:61], v48, v48                         // 000000006BCC: D048003C 00026130
	v_add3_u32 v8, v48, v11, 1                                 // 000000006BD4: D1FF0008 02061730
	v_cndmask_b32_e64 v4, v8, v10, s[60:61]                    // 000000006BDC: D1000004 00F21508
	v_cmp_u_f32_e64 s[60:61], v49, v49                         // 000000006BE4: D048003C 00026331
	v_add3_u32 v8, v49, v11, 1                                 // 000000006BEC: D1FF0008 02061731
	v_cndmask_b32_e64 v5, v8, v10, s[60:61]                    // 000000006BF4: D1000005 00F21508
	v_perm_b32 v70, v5, v4, s35                                // 000000006BFC: D1ED0046 008E0905
	v_cmp_u_f32_e64 s[60:61], v50, v50                         // 000000006C04: D048003C 00026532
	v_add3_u32 v8, v50, v11, 1                                 // 000000006C0C: D1FF0008 02061732
	v_cndmask_b32_e64 v4, v8, v10, s[60:61]                    // 000000006C14: D1000004 00F21508
	v_cmp_u_f32_e64 s[60:61], v51, v51                         // 000000006C1C: D048003C 00026733
	v_add3_u32 v8, v51, v11, 1                                 // 000000006C24: D1FF0008 02061733
	v_cndmask_b32_e64 v5, v8, v10, s[60:61]                    // 000000006C2C: D1000005 00F21508
	v_perm_b32 v71, v5, v4, s35                                // 000000006C34: D1ED0047 008E0905
	buffer_store_dwordx2 v[70:71], v13, s[16:19], 0 offen      // 000000006C3C: E0741000 8004460D
	v_cmp_u_f32_e64 s[60:61], v52, v52                         // 000000006C44: D048003C 00026934
	v_add3_u32 v8, v52, v11, 1                                 // 000000006C4C: D1FF0008 02061734
	v_cndmask_b32_e64 v4, v8, v10, s[60:61]                    // 000000006C54: D1000004 00F21508
	v_cmp_u_f32_e64 s[60:61], v53, v53                         // 000000006C5C: D048003C 00026B35
	v_add3_u32 v8, v53, v11, 1                                 // 000000006C64: D1FF0008 02061735
	v_cndmask_b32_e64 v5, v8, v10, s[60:61]                    // 000000006C6C: D1000005 00F21508
	v_perm_b32 v72, v5, v4, s35                                // 000000006C74: D1ED0048 008E0905
	v_cmp_u_f32_e64 s[60:61], v54, v54                         // 000000006C7C: D048003C 00026D36
	v_add3_u32 v8, v54, v11, 1                                 // 000000006C84: D1FF0008 02061736
	v_cndmask_b32_e64 v4, v8, v10, s[60:61]                    // 000000006C8C: D1000004 00F21508
	v_cmp_u_f32_e64 s[60:61], v55, v55                         // 000000006C94: D048003C 00026F37
	v_add3_u32 v8, v55, v11, 1                                 // 000000006C9C: D1FF0008 02061737
	v_cndmask_b32_e64 v5, v8, v10, s[60:61]                    // 000000006CA4: D1000005 00F21508
	v_perm_b32 v73, v5, v4, s35                                // 000000006CAC: D1ED0049 008E0905
	buffer_store_dwordx2 v[72:73], v14, s[16:19], 0 offen      // 000000006CB4: E0741000 8004480E
	v_cmp_u_f32_e64 s[60:61], v56, v56                         // 000000006CBC: D048003C 00027138
	v_add3_u32 v8, v56, v11, 1                                 // 000000006CC4: D1FF0008 02061738
	v_cndmask_b32_e64 v4, v8, v10, s[60:61]                    // 000000006CCC: D1000004 00F21508
	v_cmp_u_f32_e64 s[60:61], v57, v57                         // 000000006CD4: D048003C 00027339
	v_add3_u32 v8, v57, v11, 1                                 // 000000006CDC: D1FF0008 02061739
	v_cndmask_b32_e64 v5, v8, v10, s[60:61]                    // 000000006CE4: D1000005 00F21508
	v_perm_b32 v74, v5, v4, s35                                // 000000006CEC: D1ED004A 008E0905
	v_cmp_u_f32_e64 s[60:61], v58, v58                         // 000000006CF4: D048003C 0002753A
	v_add3_u32 v8, v58, v11, 1                                 // 000000006CFC: D1FF0008 0206173A
	v_cndmask_b32_e64 v4, v8, v10, s[60:61]                    // 000000006D04: D1000004 00F21508
	v_cmp_u_f32_e64 s[60:61], v59, v59                         // 000000006D0C: D048003C 0002773B
	v_add3_u32 v8, v59, v11, 1                                 // 000000006D14: D1FF0008 0206173B
	v_cndmask_b32_e64 v5, v8, v10, s[60:61]                    // 000000006D1C: D1000005 00F21508
	v_perm_b32 v75, v5, v4, s35                                // 000000006D24: D1ED004B 008E0905
	buffer_store_dwordx2 v[74:75], v15, s[16:19], 0 offen      // 000000006D2C: E0741000 80044A0F
	v_cmp_u_f32_e64 s[60:61], v60, v60                         // 000000006D34: D048003C 0002793C
	v_add3_u32 v8, v60, v11, 1                                 // 000000006D3C: D1FF0008 0206173C
	v_cndmask_b32_e64 v4, v8, v10, s[60:61]                    // 000000006D44: D1000004 00F21508
	v_cmp_u_f32_e64 s[60:61], v61, v61                         // 000000006D4C: D048003C 00027B3D
	v_add3_u32 v8, v61, v11, 1                                 // 000000006D54: D1FF0008 0206173D
	v_cndmask_b32_e64 v5, v8, v10, s[60:61]                    // 000000006D5C: D1000005 00F21508
	v_perm_b32 v76, v5, v4, s35                                // 000000006D64: D1ED004C 008E0905
	v_cmp_u_f32_e64 s[60:61], v62, v62                         // 000000006D6C: D048003C 00027D3E
	v_add3_u32 v8, v62, v11, 1                                 // 000000006D74: D1FF0008 0206173E
	v_cndmask_b32_e64 v4, v8, v10, s[60:61]                    // 000000006D7C: D1000004 00F21508
	v_cmp_u_f32_e64 s[60:61], v63, v63                         // 000000006D84: D048003C 00027F3F
	v_add3_u32 v8, v63, v11, 1                                 // 000000006D8C: D1FF0008 0206173F
	v_cndmask_b32_e64 v5, v8, v10, s[60:61]                    // 000000006D94: D1000005 00F21508
	v_perm_b32 v77, v5, v4, s35                                // 000000006D9C: D1ED004D 008E0905
	buffer_store_dwordx2 v[76:77], v16, s[16:19], 0 offen      // 000000006DA4: E0741000 80044C10
	v_cmp_u_f32_e64 s[60:61], v64, v64                         // 000000006DAC: D048003C 00028140
	v_add3_u32 v8, v64, v11, 1                                 // 000000006DB4: D1FF0008 02061740
	v_cndmask_b32_e64 v4, v8, v10, s[60:61]                    // 000000006DBC: D1000004 00F21508
	v_cmp_u_f32_e64 s[60:61], v65, v65                         // 000000006DC4: D048003C 00028341
	v_add3_u32 v8, v65, v11, 1                                 // 000000006DCC: D1FF0008 02061741
	v_cndmask_b32_e64 v5, v8, v10, s[60:61]                    // 000000006DD4: D1000005 00F21508
	v_perm_b32 v78, v5, v4, s35                                // 000000006DDC: D1ED004E 008E0905
	v_cmp_u_f32_e64 s[60:61], v66, v66                         // 000000006DE4: D048003C 00028542
	v_add3_u32 v8, v66, v11, 1                                 // 000000006DEC: D1FF0008 02061742
	v_cndmask_b32_e64 v4, v8, v10, s[60:61]                    // 000000006DF4: D1000004 00F21508
	v_cmp_u_f32_e64 s[60:61], v67, v67                         // 000000006DFC: D048003C 00028743
	v_add3_u32 v8, v67, v11, 1                                 // 000000006E04: D1FF0008 02061743
	v_cndmask_b32_e64 v5, v8, v10, s[60:61]                    // 000000006E0C: D1000005 00F21508
	v_perm_b32 v79, v5, v4, s35                                // 000000006E14: D1ED004F 008E0905
	buffer_store_dwordx2 v[78:79], v17, s[16:19], 0 offen      // 000000006E1C: E0741000 80044E11

0000000000006e24 <label_1109>:
	s_waitcnt vmcnt(0) expcnt(0) lgkmcnt(0)                    // 000000006E24: BF8C0000
	s_endpgm                                                   // 000000006E28: BF810000
